;; amdgpu-corpus repo=ROCm/rocThrust kind=compiled arch=gfx942 opt=O3
	.text
	.amdgcn_target "amdgcn-amd-amdhsa--gfx942"
	.amdhsa_code_object_version 6
	.section	.text._ZN6thrust23THRUST_200600_302600_NS11hip_rocprim14__parallel_for6kernelILj256ENS1_20__uninitialized_fill7functorINS0_10device_ptrIfEEfEEmLj1EEEvT0_T1_SA_,"axG",@progbits,_ZN6thrust23THRUST_200600_302600_NS11hip_rocprim14__parallel_for6kernelILj256ENS1_20__uninitialized_fill7functorINS0_10device_ptrIfEEfEEmLj1EEEvT0_T1_SA_,comdat
	.protected	_ZN6thrust23THRUST_200600_302600_NS11hip_rocprim14__parallel_for6kernelILj256ENS1_20__uninitialized_fill7functorINS0_10device_ptrIfEEfEEmLj1EEEvT0_T1_SA_ ; -- Begin function _ZN6thrust23THRUST_200600_302600_NS11hip_rocprim14__parallel_for6kernelILj256ENS1_20__uninitialized_fill7functorINS0_10device_ptrIfEEfEEmLj1EEEvT0_T1_SA_
	.globl	_ZN6thrust23THRUST_200600_302600_NS11hip_rocprim14__parallel_for6kernelILj256ENS1_20__uninitialized_fill7functorINS0_10device_ptrIfEEfEEmLj1EEEvT0_T1_SA_
	.p2align	8
	.type	_ZN6thrust23THRUST_200600_302600_NS11hip_rocprim14__parallel_for6kernelILj256ENS1_20__uninitialized_fill7functorINS0_10device_ptrIfEEfEEmLj1EEEvT0_T1_SA_,@function
_ZN6thrust23THRUST_200600_302600_NS11hip_rocprim14__parallel_for6kernelILj256ENS1_20__uninitialized_fill7functorINS0_10device_ptrIfEEfEEmLj1EEEvT0_T1_SA_: ; @_ZN6thrust23THRUST_200600_302600_NS11hip_rocprim14__parallel_for6kernelILj256ENS1_20__uninitialized_fill7functorINS0_10device_ptrIfEEfEEmLj1EEEvT0_T1_SA_
; %bb.0:
	s_load_dwordx4 s[4:7], s[0:1], 0x10
	s_lshl_b32 s2, s2, 8
	v_mov_b64_e32 v[2:3], 0x100
	s_waitcnt lgkmcnt(0)
	s_add_u32 s2, s2, s6
	s_addc_u32 s3, 0, s7
	s_sub_u32 s4, s4, s2
	s_subb_u32 s5, s5, s3
	v_cmp_lt_u64_e32 vcc, s[4:5], v[2:3]
	s_cbranch_vccz .LBB0_2
; %bb.1:
	v_cmp_gt_u32_e32 vcc, s4, v0
	s_and_b64 s[4:5], vcc, exec
	s_cbranch_execz .LBB0_3
	s_branch .LBB0_4
.LBB0_2:
	s_mov_b64 s[4:5], 0
.LBB0_3:
	s_or_b64 s[4:5], s[4:5], exec
.LBB0_4:
	s_and_saveexec_b64 s[6:7], s[4:5]
	s_cbranch_execnz .LBB0_6
; %bb.5:
	s_endpgm
.LBB0_6:
	s_load_dwordx2 s[4:5], s[0:1], 0x0
	s_load_dword s6, s[0:1], 0x8
	s_lshl_b64 s[0:1], s[2:3], 2
	v_mov_b32_e32 v1, 0
	s_waitcnt lgkmcnt(0)
	s_add_u32 s0, s4, s0
	s_addc_u32 s1, s5, s1
	v_lshl_add_u64 v[0:1], v[0:1], 2, s[0:1]
	v_mov_b32_e32 v2, s6
	flat_store_dword v[0:1], v2
	s_endpgm
	.section	.rodata,"a",@progbits
	.p2align	6, 0x0
	.amdhsa_kernel _ZN6thrust23THRUST_200600_302600_NS11hip_rocprim14__parallel_for6kernelILj256ENS1_20__uninitialized_fill7functorINS0_10device_ptrIfEEfEEmLj1EEEvT0_T1_SA_
		.amdhsa_group_segment_fixed_size 0
		.amdhsa_private_segment_fixed_size 0
		.amdhsa_kernarg_size 32
		.amdhsa_user_sgpr_count 2
		.amdhsa_user_sgpr_dispatch_ptr 0
		.amdhsa_user_sgpr_queue_ptr 0
		.amdhsa_user_sgpr_kernarg_segment_ptr 1
		.amdhsa_user_sgpr_dispatch_id 0
		.amdhsa_user_sgpr_kernarg_preload_length 0
		.amdhsa_user_sgpr_kernarg_preload_offset 0
		.amdhsa_user_sgpr_private_segment_size 0
		.amdhsa_uses_dynamic_stack 0
		.amdhsa_enable_private_segment 0
		.amdhsa_system_sgpr_workgroup_id_x 1
		.amdhsa_system_sgpr_workgroup_id_y 0
		.amdhsa_system_sgpr_workgroup_id_z 0
		.amdhsa_system_sgpr_workgroup_info 0
		.amdhsa_system_vgpr_workitem_id 0
		.amdhsa_next_free_vgpr 4
		.amdhsa_next_free_sgpr 8
		.amdhsa_accum_offset 4
		.amdhsa_reserve_vcc 1
		.amdhsa_float_round_mode_32 0
		.amdhsa_float_round_mode_16_64 0
		.amdhsa_float_denorm_mode_32 3
		.amdhsa_float_denorm_mode_16_64 3
		.amdhsa_dx10_clamp 1
		.amdhsa_ieee_mode 1
		.amdhsa_fp16_overflow 0
		.amdhsa_tg_split 0
		.amdhsa_exception_fp_ieee_invalid_op 0
		.amdhsa_exception_fp_denorm_src 0
		.amdhsa_exception_fp_ieee_div_zero 0
		.amdhsa_exception_fp_ieee_overflow 0
		.amdhsa_exception_fp_ieee_underflow 0
		.amdhsa_exception_fp_ieee_inexact 0
		.amdhsa_exception_int_div_zero 0
	.end_amdhsa_kernel
	.section	.text._ZN6thrust23THRUST_200600_302600_NS11hip_rocprim14__parallel_for6kernelILj256ENS1_20__uninitialized_fill7functorINS0_10device_ptrIfEEfEEmLj1EEEvT0_T1_SA_,"axG",@progbits,_ZN6thrust23THRUST_200600_302600_NS11hip_rocprim14__parallel_for6kernelILj256ENS1_20__uninitialized_fill7functorINS0_10device_ptrIfEEfEEmLj1EEEvT0_T1_SA_,comdat
.Lfunc_end0:
	.size	_ZN6thrust23THRUST_200600_302600_NS11hip_rocprim14__parallel_for6kernelILj256ENS1_20__uninitialized_fill7functorINS0_10device_ptrIfEEfEEmLj1EEEvT0_T1_SA_, .Lfunc_end0-_ZN6thrust23THRUST_200600_302600_NS11hip_rocprim14__parallel_for6kernelILj256ENS1_20__uninitialized_fill7functorINS0_10device_ptrIfEEfEEmLj1EEEvT0_T1_SA_
                                        ; -- End function
	.section	.AMDGPU.csdata,"",@progbits
; Kernel info:
; codeLenInByte = 144
; NumSgprs: 14
; NumVgprs: 4
; NumAgprs: 0
; TotalNumVgprs: 4
; ScratchSize: 0
; MemoryBound: 0
; FloatMode: 240
; IeeeMode: 1
; LDSByteSize: 0 bytes/workgroup (compile time only)
; SGPRBlocks: 1
; VGPRBlocks: 0
; NumSGPRsForWavesPerEU: 14
; NumVGPRsForWavesPerEU: 4
; AccumOffset: 4
; Occupancy: 8
; WaveLimiterHint : 0
; COMPUTE_PGM_RSRC2:SCRATCH_EN: 0
; COMPUTE_PGM_RSRC2:USER_SGPR: 2
; COMPUTE_PGM_RSRC2:TRAP_HANDLER: 0
; COMPUTE_PGM_RSRC2:TGID_X_EN: 1
; COMPUTE_PGM_RSRC2:TGID_Y_EN: 0
; COMPUTE_PGM_RSRC2:TGID_Z_EN: 0
; COMPUTE_PGM_RSRC2:TIDIG_COMP_CNT: 0
; COMPUTE_PGM_RSRC3_GFX90A:ACCUM_OFFSET: 0
; COMPUTE_PGM_RSRC3_GFX90A:TG_SPLIT: 0
	.section	.text._ZN7rocprim17ROCPRIM_400000_NS6detail31init_lookback_scan_state_kernelINS1_19lookback_scan_stateIfLb0ELb1EEENS1_16block_id_wrapperIjLb0EEEEEvT_jT0_jPNS7_10value_typeE,"axG",@progbits,_ZN7rocprim17ROCPRIM_400000_NS6detail31init_lookback_scan_state_kernelINS1_19lookback_scan_stateIfLb0ELb1EEENS1_16block_id_wrapperIjLb0EEEEEvT_jT0_jPNS7_10value_typeE,comdat
	.protected	_ZN7rocprim17ROCPRIM_400000_NS6detail31init_lookback_scan_state_kernelINS1_19lookback_scan_stateIfLb0ELb1EEENS1_16block_id_wrapperIjLb0EEEEEvT_jT0_jPNS7_10value_typeE ; -- Begin function _ZN7rocprim17ROCPRIM_400000_NS6detail31init_lookback_scan_state_kernelINS1_19lookback_scan_stateIfLb0ELb1EEENS1_16block_id_wrapperIjLb0EEEEEvT_jT0_jPNS7_10value_typeE
	.globl	_ZN7rocprim17ROCPRIM_400000_NS6detail31init_lookback_scan_state_kernelINS1_19lookback_scan_stateIfLb0ELb1EEENS1_16block_id_wrapperIjLb0EEEEEvT_jT0_jPNS7_10value_typeE
	.p2align	8
	.type	_ZN7rocprim17ROCPRIM_400000_NS6detail31init_lookback_scan_state_kernelINS1_19lookback_scan_stateIfLb0ELb1EEENS1_16block_id_wrapperIjLb0EEEEEvT_jT0_jPNS7_10value_typeE,@function
_ZN7rocprim17ROCPRIM_400000_NS6detail31init_lookback_scan_state_kernelINS1_19lookback_scan_stateIfLb0ELb1EEENS1_16block_id_wrapperIjLb0EEEEEvT_jT0_jPNS7_10value_typeE: ; @_ZN7rocprim17ROCPRIM_400000_NS6detail31init_lookback_scan_state_kernelINS1_19lookback_scan_stateIfLb0ELb1EEENS1_16block_id_wrapperIjLb0EEEEEvT_jT0_jPNS7_10value_typeE
; %bb.0:
	s_load_dword s3, s[0:1], 0x2c
	s_load_dwordx2 s[6:7], s[0:1], 0x18
	s_load_dwordx2 s[4:5], s[0:1], 0x0
	s_load_dword s8, s[0:1], 0x8
	s_waitcnt lgkmcnt(0)
	s_and_b32 s3, s3, 0xffff
	s_mul_i32 s2, s2, s3
	s_cmp_eq_u64 s[6:7], 0
	v_add_u32_e32 v0, s2, v0
	s_cbranch_scc1 .LBB1_6
; %bb.1:
	s_load_dword s2, s[0:1], 0x10
	s_mov_b32 s3, 0
	s_waitcnt lgkmcnt(0)
	s_cmp_lt_u32 s2, s8
	s_cselect_b32 s0, s2, 0
	v_cmp_eq_u32_e32 vcc, s0, v0
	s_and_saveexec_b64 s[0:1], vcc
	s_cbranch_execz .LBB1_5
; %bb.2:
	s_add_i32 s2, s2, 64
	s_lshl_b64 s[2:3], s[2:3], 3
	s_add_u32 s2, s4, s2
	s_addc_u32 s3, s5, s3
	v_mov_b32_e32 v4, 0
	global_load_dwordx2 v[2:3], v4, s[2:3] sc1
	s_waitcnt vmcnt(0)
	v_and_b32_e32 v5, 0xff, v3
	v_cmp_ne_u64_e32 vcc, 0, v[4:5]
	s_cbranch_vccnz .LBB1_4
.LBB1_3:                                ; =>This Inner Loop Header: Depth=1
	global_load_dwordx2 v[2:3], v4, s[2:3] sc1
	s_waitcnt vmcnt(0)
	v_and_b32_e32 v5, 0xff, v3
	v_cmp_eq_u64_e32 vcc, 0, v[4:5]
	s_cbranch_vccnz .LBB1_3
.LBB1_4:
	v_mov_b32_e32 v1, 0
	global_store_dword v1, v2, s[6:7]
.LBB1_5:
	s_or_b64 exec, exec, s[0:1]
.LBB1_6:
	v_cmp_gt_u32_e32 vcc, s8, v0
	s_and_saveexec_b64 s[0:1], vcc
	s_cbranch_execnz .LBB1_9
; %bb.7:
	s_or_b64 exec, exec, s[0:1]
	v_cmp_gt_u32_e32 vcc, 64, v0
	s_and_saveexec_b64 s[0:1], vcc
	s_cbranch_execnz .LBB1_10
.LBB1_8:
	s_endpgm
.LBB1_9:
	v_add_u32_e32 v2, 64, v0
	v_mov_b32_e32 v3, 0
	v_lshl_add_u64 v[4:5], v[2:3], 3, s[4:5]
	v_mov_b32_e32 v2, v3
	global_store_dwordx2 v[4:5], v[2:3], off
	s_or_b64 exec, exec, s[0:1]
	v_cmp_gt_u32_e32 vcc, 64, v0
	s_and_saveexec_b64 s[0:1], vcc
	s_cbranch_execz .LBB1_8
.LBB1_10:
	v_mov_b32_e32 v1, 0
	v_lshl_add_u64 v[2:3], v[0:1], 3, s[4:5]
	v_mov_b32_e32 v5, 0xff
	v_mov_b32_e32 v4, v1
	global_store_dwordx2 v[2:3], v[4:5], off
	s_endpgm
	.section	.rodata,"a",@progbits
	.p2align	6, 0x0
	.amdhsa_kernel _ZN7rocprim17ROCPRIM_400000_NS6detail31init_lookback_scan_state_kernelINS1_19lookback_scan_stateIfLb0ELb1EEENS1_16block_id_wrapperIjLb0EEEEEvT_jT0_jPNS7_10value_typeE
		.amdhsa_group_segment_fixed_size 0
		.amdhsa_private_segment_fixed_size 0
		.amdhsa_kernarg_size 288
		.amdhsa_user_sgpr_count 2
		.amdhsa_user_sgpr_dispatch_ptr 0
		.amdhsa_user_sgpr_queue_ptr 0
		.amdhsa_user_sgpr_kernarg_segment_ptr 1
		.amdhsa_user_sgpr_dispatch_id 0
		.amdhsa_user_sgpr_kernarg_preload_length 0
		.amdhsa_user_sgpr_kernarg_preload_offset 0
		.amdhsa_user_sgpr_private_segment_size 0
		.amdhsa_uses_dynamic_stack 0
		.amdhsa_enable_private_segment 0
		.amdhsa_system_sgpr_workgroup_id_x 1
		.amdhsa_system_sgpr_workgroup_id_y 0
		.amdhsa_system_sgpr_workgroup_id_z 0
		.amdhsa_system_sgpr_workgroup_info 0
		.amdhsa_system_vgpr_workitem_id 0
		.amdhsa_next_free_vgpr 6
		.amdhsa_next_free_sgpr 9
		.amdhsa_accum_offset 8
		.amdhsa_reserve_vcc 1
		.amdhsa_float_round_mode_32 0
		.amdhsa_float_round_mode_16_64 0
		.amdhsa_float_denorm_mode_32 3
		.amdhsa_float_denorm_mode_16_64 3
		.amdhsa_dx10_clamp 1
		.amdhsa_ieee_mode 1
		.amdhsa_fp16_overflow 0
		.amdhsa_tg_split 0
		.amdhsa_exception_fp_ieee_invalid_op 0
		.amdhsa_exception_fp_denorm_src 0
		.amdhsa_exception_fp_ieee_div_zero 0
		.amdhsa_exception_fp_ieee_overflow 0
		.amdhsa_exception_fp_ieee_underflow 0
		.amdhsa_exception_fp_ieee_inexact 0
		.amdhsa_exception_int_div_zero 0
	.end_amdhsa_kernel
	.section	.text._ZN7rocprim17ROCPRIM_400000_NS6detail31init_lookback_scan_state_kernelINS1_19lookback_scan_stateIfLb0ELb1EEENS1_16block_id_wrapperIjLb0EEEEEvT_jT0_jPNS7_10value_typeE,"axG",@progbits,_ZN7rocprim17ROCPRIM_400000_NS6detail31init_lookback_scan_state_kernelINS1_19lookback_scan_stateIfLb0ELb1EEENS1_16block_id_wrapperIjLb0EEEEEvT_jT0_jPNS7_10value_typeE,comdat
.Lfunc_end1:
	.size	_ZN7rocprim17ROCPRIM_400000_NS6detail31init_lookback_scan_state_kernelINS1_19lookback_scan_stateIfLb0ELb1EEENS1_16block_id_wrapperIjLb0EEEEEvT_jT0_jPNS7_10value_typeE, .Lfunc_end1-_ZN7rocprim17ROCPRIM_400000_NS6detail31init_lookback_scan_state_kernelINS1_19lookback_scan_stateIfLb0ELb1EEENS1_16block_id_wrapperIjLb0EEEEEvT_jT0_jPNS7_10value_typeE
                                        ; -- End function
	.section	.AMDGPU.csdata,"",@progbits
; Kernel info:
; codeLenInByte = 300
; NumSgprs: 15
; NumVgprs: 6
; NumAgprs: 0
; TotalNumVgprs: 6
; ScratchSize: 0
; MemoryBound: 0
; FloatMode: 240
; IeeeMode: 1
; LDSByteSize: 0 bytes/workgroup (compile time only)
; SGPRBlocks: 1
; VGPRBlocks: 0
; NumSGPRsForWavesPerEU: 15
; NumVGPRsForWavesPerEU: 6
; AccumOffset: 8
; Occupancy: 8
; WaveLimiterHint : 0
; COMPUTE_PGM_RSRC2:SCRATCH_EN: 0
; COMPUTE_PGM_RSRC2:USER_SGPR: 2
; COMPUTE_PGM_RSRC2:TRAP_HANDLER: 0
; COMPUTE_PGM_RSRC2:TGID_X_EN: 1
; COMPUTE_PGM_RSRC2:TGID_Y_EN: 0
; COMPUTE_PGM_RSRC2:TGID_Z_EN: 0
; COMPUTE_PGM_RSRC2:TIDIG_COMP_CNT: 0
; COMPUTE_PGM_RSRC3_GFX90A:ACCUM_OFFSET: 1
; COMPUTE_PGM_RSRC3_GFX90A:TG_SPLIT: 0
	.section	.text._ZN7rocprim17ROCPRIM_400000_NS6detail17trampoline_kernelINS0_14default_configENS1_20scan_config_selectorIfEEZZNS1_9scan_implILNS1_25lookback_scan_determinismE0ELb1ELb1ES3_N6thrust23THRUST_200600_302600_NS6detail15normal_iteratorINS9_10device_ptrIKfEEEENSB_INSC_IfEEEEfNS9_4plusIvEEfEEDaPvRmT3_T4_T5_mT6_P12ihipStream_tbENKUlT_T0_E_clISt17integral_constantIbLb0EESX_EEDaSS_ST_EUlSS_E_NS1_11comp_targetILNS1_3genE0ELNS1_11target_archE4294967295ELNS1_3gpuE0ELNS1_3repE0EEENS1_30default_config_static_selectorELNS0_4arch9wavefront6targetE1EEEvT1_,"axG",@progbits,_ZN7rocprim17ROCPRIM_400000_NS6detail17trampoline_kernelINS0_14default_configENS1_20scan_config_selectorIfEEZZNS1_9scan_implILNS1_25lookback_scan_determinismE0ELb1ELb1ES3_N6thrust23THRUST_200600_302600_NS6detail15normal_iteratorINS9_10device_ptrIKfEEEENSB_INSC_IfEEEEfNS9_4plusIvEEfEEDaPvRmT3_T4_T5_mT6_P12ihipStream_tbENKUlT_T0_E_clISt17integral_constantIbLb0EESX_EEDaSS_ST_EUlSS_E_NS1_11comp_targetILNS1_3genE0ELNS1_11target_archE4294967295ELNS1_3gpuE0ELNS1_3repE0EEENS1_30default_config_static_selectorELNS0_4arch9wavefront6targetE1EEEvT1_,comdat
	.protected	_ZN7rocprim17ROCPRIM_400000_NS6detail17trampoline_kernelINS0_14default_configENS1_20scan_config_selectorIfEEZZNS1_9scan_implILNS1_25lookback_scan_determinismE0ELb1ELb1ES3_N6thrust23THRUST_200600_302600_NS6detail15normal_iteratorINS9_10device_ptrIKfEEEENSB_INSC_IfEEEEfNS9_4plusIvEEfEEDaPvRmT3_T4_T5_mT6_P12ihipStream_tbENKUlT_T0_E_clISt17integral_constantIbLb0EESX_EEDaSS_ST_EUlSS_E_NS1_11comp_targetILNS1_3genE0ELNS1_11target_archE4294967295ELNS1_3gpuE0ELNS1_3repE0EEENS1_30default_config_static_selectorELNS0_4arch9wavefront6targetE1EEEvT1_ ; -- Begin function _ZN7rocprim17ROCPRIM_400000_NS6detail17trampoline_kernelINS0_14default_configENS1_20scan_config_selectorIfEEZZNS1_9scan_implILNS1_25lookback_scan_determinismE0ELb1ELb1ES3_N6thrust23THRUST_200600_302600_NS6detail15normal_iteratorINS9_10device_ptrIKfEEEENSB_INSC_IfEEEEfNS9_4plusIvEEfEEDaPvRmT3_T4_T5_mT6_P12ihipStream_tbENKUlT_T0_E_clISt17integral_constantIbLb0EESX_EEDaSS_ST_EUlSS_E_NS1_11comp_targetILNS1_3genE0ELNS1_11target_archE4294967295ELNS1_3gpuE0ELNS1_3repE0EEENS1_30default_config_static_selectorELNS0_4arch9wavefront6targetE1EEEvT1_
	.globl	_ZN7rocprim17ROCPRIM_400000_NS6detail17trampoline_kernelINS0_14default_configENS1_20scan_config_selectorIfEEZZNS1_9scan_implILNS1_25lookback_scan_determinismE0ELb1ELb1ES3_N6thrust23THRUST_200600_302600_NS6detail15normal_iteratorINS9_10device_ptrIKfEEEENSB_INSC_IfEEEEfNS9_4plusIvEEfEEDaPvRmT3_T4_T5_mT6_P12ihipStream_tbENKUlT_T0_E_clISt17integral_constantIbLb0EESX_EEDaSS_ST_EUlSS_E_NS1_11comp_targetILNS1_3genE0ELNS1_11target_archE4294967295ELNS1_3gpuE0ELNS1_3repE0EEENS1_30default_config_static_selectorELNS0_4arch9wavefront6targetE1EEEvT1_
	.p2align	8
	.type	_ZN7rocprim17ROCPRIM_400000_NS6detail17trampoline_kernelINS0_14default_configENS1_20scan_config_selectorIfEEZZNS1_9scan_implILNS1_25lookback_scan_determinismE0ELb1ELb1ES3_N6thrust23THRUST_200600_302600_NS6detail15normal_iteratorINS9_10device_ptrIKfEEEENSB_INSC_IfEEEEfNS9_4plusIvEEfEEDaPvRmT3_T4_T5_mT6_P12ihipStream_tbENKUlT_T0_E_clISt17integral_constantIbLb0EESX_EEDaSS_ST_EUlSS_E_NS1_11comp_targetILNS1_3genE0ELNS1_11target_archE4294967295ELNS1_3gpuE0ELNS1_3repE0EEENS1_30default_config_static_selectorELNS0_4arch9wavefront6targetE1EEEvT1_,@function
_ZN7rocprim17ROCPRIM_400000_NS6detail17trampoline_kernelINS0_14default_configENS1_20scan_config_selectorIfEEZZNS1_9scan_implILNS1_25lookback_scan_determinismE0ELb1ELb1ES3_N6thrust23THRUST_200600_302600_NS6detail15normal_iteratorINS9_10device_ptrIKfEEEENSB_INSC_IfEEEEfNS9_4plusIvEEfEEDaPvRmT3_T4_T5_mT6_P12ihipStream_tbENKUlT_T0_E_clISt17integral_constantIbLb0EESX_EEDaSS_ST_EUlSS_E_NS1_11comp_targetILNS1_3genE0ELNS1_11target_archE4294967295ELNS1_3gpuE0ELNS1_3repE0EEENS1_30default_config_static_selectorELNS0_4arch9wavefront6targetE1EEEvT1_: ; @_ZN7rocprim17ROCPRIM_400000_NS6detail17trampoline_kernelINS0_14default_configENS1_20scan_config_selectorIfEEZZNS1_9scan_implILNS1_25lookback_scan_determinismE0ELb1ELb1ES3_N6thrust23THRUST_200600_302600_NS6detail15normal_iteratorINS9_10device_ptrIKfEEEENSB_INSC_IfEEEEfNS9_4plusIvEEfEEDaPvRmT3_T4_T5_mT6_P12ihipStream_tbENKUlT_T0_E_clISt17integral_constantIbLb0EESX_EEDaSS_ST_EUlSS_E_NS1_11comp_targetILNS1_3genE0ELNS1_11target_archE4294967295ELNS1_3gpuE0ELNS1_3repE0EEENS1_30default_config_static_selectorELNS0_4arch9wavefront6targetE1EEEvT1_
; %bb.0:
	.section	.rodata,"a",@progbits
	.p2align	6, 0x0
	.amdhsa_kernel _ZN7rocprim17ROCPRIM_400000_NS6detail17trampoline_kernelINS0_14default_configENS1_20scan_config_selectorIfEEZZNS1_9scan_implILNS1_25lookback_scan_determinismE0ELb1ELb1ES3_N6thrust23THRUST_200600_302600_NS6detail15normal_iteratorINS9_10device_ptrIKfEEEENSB_INSC_IfEEEEfNS9_4plusIvEEfEEDaPvRmT3_T4_T5_mT6_P12ihipStream_tbENKUlT_T0_E_clISt17integral_constantIbLb0EESX_EEDaSS_ST_EUlSS_E_NS1_11comp_targetILNS1_3genE0ELNS1_11target_archE4294967295ELNS1_3gpuE0ELNS1_3repE0EEENS1_30default_config_static_selectorELNS0_4arch9wavefront6targetE1EEEvT1_
		.amdhsa_group_segment_fixed_size 0
		.amdhsa_private_segment_fixed_size 0
		.amdhsa_kernarg_size 96
		.amdhsa_user_sgpr_count 2
		.amdhsa_user_sgpr_dispatch_ptr 0
		.amdhsa_user_sgpr_queue_ptr 0
		.amdhsa_user_sgpr_kernarg_segment_ptr 1
		.amdhsa_user_sgpr_dispatch_id 0
		.amdhsa_user_sgpr_kernarg_preload_length 0
		.amdhsa_user_sgpr_kernarg_preload_offset 0
		.amdhsa_user_sgpr_private_segment_size 0
		.amdhsa_uses_dynamic_stack 0
		.amdhsa_enable_private_segment 0
		.amdhsa_system_sgpr_workgroup_id_x 1
		.amdhsa_system_sgpr_workgroup_id_y 0
		.amdhsa_system_sgpr_workgroup_id_z 0
		.amdhsa_system_sgpr_workgroup_info 0
		.amdhsa_system_vgpr_workitem_id 0
		.amdhsa_next_free_vgpr 1
		.amdhsa_next_free_sgpr 0
		.amdhsa_accum_offset 4
		.amdhsa_reserve_vcc 0
		.amdhsa_float_round_mode_32 0
		.amdhsa_float_round_mode_16_64 0
		.amdhsa_float_denorm_mode_32 3
		.amdhsa_float_denorm_mode_16_64 3
		.amdhsa_dx10_clamp 1
		.amdhsa_ieee_mode 1
		.amdhsa_fp16_overflow 0
		.amdhsa_tg_split 0
		.amdhsa_exception_fp_ieee_invalid_op 0
		.amdhsa_exception_fp_denorm_src 0
		.amdhsa_exception_fp_ieee_div_zero 0
		.amdhsa_exception_fp_ieee_overflow 0
		.amdhsa_exception_fp_ieee_underflow 0
		.amdhsa_exception_fp_ieee_inexact 0
		.amdhsa_exception_int_div_zero 0
	.end_amdhsa_kernel
	.section	.text._ZN7rocprim17ROCPRIM_400000_NS6detail17trampoline_kernelINS0_14default_configENS1_20scan_config_selectorIfEEZZNS1_9scan_implILNS1_25lookback_scan_determinismE0ELb1ELb1ES3_N6thrust23THRUST_200600_302600_NS6detail15normal_iteratorINS9_10device_ptrIKfEEEENSB_INSC_IfEEEEfNS9_4plusIvEEfEEDaPvRmT3_T4_T5_mT6_P12ihipStream_tbENKUlT_T0_E_clISt17integral_constantIbLb0EESX_EEDaSS_ST_EUlSS_E_NS1_11comp_targetILNS1_3genE0ELNS1_11target_archE4294967295ELNS1_3gpuE0ELNS1_3repE0EEENS1_30default_config_static_selectorELNS0_4arch9wavefront6targetE1EEEvT1_,"axG",@progbits,_ZN7rocprim17ROCPRIM_400000_NS6detail17trampoline_kernelINS0_14default_configENS1_20scan_config_selectorIfEEZZNS1_9scan_implILNS1_25lookback_scan_determinismE0ELb1ELb1ES3_N6thrust23THRUST_200600_302600_NS6detail15normal_iteratorINS9_10device_ptrIKfEEEENSB_INSC_IfEEEEfNS9_4plusIvEEfEEDaPvRmT3_T4_T5_mT6_P12ihipStream_tbENKUlT_T0_E_clISt17integral_constantIbLb0EESX_EEDaSS_ST_EUlSS_E_NS1_11comp_targetILNS1_3genE0ELNS1_11target_archE4294967295ELNS1_3gpuE0ELNS1_3repE0EEENS1_30default_config_static_selectorELNS0_4arch9wavefront6targetE1EEEvT1_,comdat
.Lfunc_end2:
	.size	_ZN7rocprim17ROCPRIM_400000_NS6detail17trampoline_kernelINS0_14default_configENS1_20scan_config_selectorIfEEZZNS1_9scan_implILNS1_25lookback_scan_determinismE0ELb1ELb1ES3_N6thrust23THRUST_200600_302600_NS6detail15normal_iteratorINS9_10device_ptrIKfEEEENSB_INSC_IfEEEEfNS9_4plusIvEEfEEDaPvRmT3_T4_T5_mT6_P12ihipStream_tbENKUlT_T0_E_clISt17integral_constantIbLb0EESX_EEDaSS_ST_EUlSS_E_NS1_11comp_targetILNS1_3genE0ELNS1_11target_archE4294967295ELNS1_3gpuE0ELNS1_3repE0EEENS1_30default_config_static_selectorELNS0_4arch9wavefront6targetE1EEEvT1_, .Lfunc_end2-_ZN7rocprim17ROCPRIM_400000_NS6detail17trampoline_kernelINS0_14default_configENS1_20scan_config_selectorIfEEZZNS1_9scan_implILNS1_25lookback_scan_determinismE0ELb1ELb1ES3_N6thrust23THRUST_200600_302600_NS6detail15normal_iteratorINS9_10device_ptrIKfEEEENSB_INSC_IfEEEEfNS9_4plusIvEEfEEDaPvRmT3_T4_T5_mT6_P12ihipStream_tbENKUlT_T0_E_clISt17integral_constantIbLb0EESX_EEDaSS_ST_EUlSS_E_NS1_11comp_targetILNS1_3genE0ELNS1_11target_archE4294967295ELNS1_3gpuE0ELNS1_3repE0EEENS1_30default_config_static_selectorELNS0_4arch9wavefront6targetE1EEEvT1_
                                        ; -- End function
	.section	.AMDGPU.csdata,"",@progbits
; Kernel info:
; codeLenInByte = 0
; NumSgprs: 6
; NumVgprs: 0
; NumAgprs: 0
; TotalNumVgprs: 0
; ScratchSize: 0
; MemoryBound: 0
; FloatMode: 240
; IeeeMode: 1
; LDSByteSize: 0 bytes/workgroup (compile time only)
; SGPRBlocks: 0
; VGPRBlocks: 0
; NumSGPRsForWavesPerEU: 6
; NumVGPRsForWavesPerEU: 1
; AccumOffset: 4
; Occupancy: 8
; WaveLimiterHint : 0
; COMPUTE_PGM_RSRC2:SCRATCH_EN: 0
; COMPUTE_PGM_RSRC2:USER_SGPR: 2
; COMPUTE_PGM_RSRC2:TRAP_HANDLER: 0
; COMPUTE_PGM_RSRC2:TGID_X_EN: 1
; COMPUTE_PGM_RSRC2:TGID_Y_EN: 0
; COMPUTE_PGM_RSRC2:TGID_Z_EN: 0
; COMPUTE_PGM_RSRC2:TIDIG_COMP_CNT: 0
; COMPUTE_PGM_RSRC3_GFX90A:ACCUM_OFFSET: 0
; COMPUTE_PGM_RSRC3_GFX90A:TG_SPLIT: 0
	.section	.text._ZN7rocprim17ROCPRIM_400000_NS6detail17trampoline_kernelINS0_14default_configENS1_20scan_config_selectorIfEEZZNS1_9scan_implILNS1_25lookback_scan_determinismE0ELb1ELb1ES3_N6thrust23THRUST_200600_302600_NS6detail15normal_iteratorINS9_10device_ptrIKfEEEENSB_INSC_IfEEEEfNS9_4plusIvEEfEEDaPvRmT3_T4_T5_mT6_P12ihipStream_tbENKUlT_T0_E_clISt17integral_constantIbLb0EESX_EEDaSS_ST_EUlSS_E_NS1_11comp_targetILNS1_3genE5ELNS1_11target_archE942ELNS1_3gpuE9ELNS1_3repE0EEENS1_30default_config_static_selectorELNS0_4arch9wavefront6targetE1EEEvT1_,"axG",@progbits,_ZN7rocprim17ROCPRIM_400000_NS6detail17trampoline_kernelINS0_14default_configENS1_20scan_config_selectorIfEEZZNS1_9scan_implILNS1_25lookback_scan_determinismE0ELb1ELb1ES3_N6thrust23THRUST_200600_302600_NS6detail15normal_iteratorINS9_10device_ptrIKfEEEENSB_INSC_IfEEEEfNS9_4plusIvEEfEEDaPvRmT3_T4_T5_mT6_P12ihipStream_tbENKUlT_T0_E_clISt17integral_constantIbLb0EESX_EEDaSS_ST_EUlSS_E_NS1_11comp_targetILNS1_3genE5ELNS1_11target_archE942ELNS1_3gpuE9ELNS1_3repE0EEENS1_30default_config_static_selectorELNS0_4arch9wavefront6targetE1EEEvT1_,comdat
	.protected	_ZN7rocprim17ROCPRIM_400000_NS6detail17trampoline_kernelINS0_14default_configENS1_20scan_config_selectorIfEEZZNS1_9scan_implILNS1_25lookback_scan_determinismE0ELb1ELb1ES3_N6thrust23THRUST_200600_302600_NS6detail15normal_iteratorINS9_10device_ptrIKfEEEENSB_INSC_IfEEEEfNS9_4plusIvEEfEEDaPvRmT3_T4_T5_mT6_P12ihipStream_tbENKUlT_T0_E_clISt17integral_constantIbLb0EESX_EEDaSS_ST_EUlSS_E_NS1_11comp_targetILNS1_3genE5ELNS1_11target_archE942ELNS1_3gpuE9ELNS1_3repE0EEENS1_30default_config_static_selectorELNS0_4arch9wavefront6targetE1EEEvT1_ ; -- Begin function _ZN7rocprim17ROCPRIM_400000_NS6detail17trampoline_kernelINS0_14default_configENS1_20scan_config_selectorIfEEZZNS1_9scan_implILNS1_25lookback_scan_determinismE0ELb1ELb1ES3_N6thrust23THRUST_200600_302600_NS6detail15normal_iteratorINS9_10device_ptrIKfEEEENSB_INSC_IfEEEEfNS9_4plusIvEEfEEDaPvRmT3_T4_T5_mT6_P12ihipStream_tbENKUlT_T0_E_clISt17integral_constantIbLb0EESX_EEDaSS_ST_EUlSS_E_NS1_11comp_targetILNS1_3genE5ELNS1_11target_archE942ELNS1_3gpuE9ELNS1_3repE0EEENS1_30default_config_static_selectorELNS0_4arch9wavefront6targetE1EEEvT1_
	.globl	_ZN7rocprim17ROCPRIM_400000_NS6detail17trampoline_kernelINS0_14default_configENS1_20scan_config_selectorIfEEZZNS1_9scan_implILNS1_25lookback_scan_determinismE0ELb1ELb1ES3_N6thrust23THRUST_200600_302600_NS6detail15normal_iteratorINS9_10device_ptrIKfEEEENSB_INSC_IfEEEEfNS9_4plusIvEEfEEDaPvRmT3_T4_T5_mT6_P12ihipStream_tbENKUlT_T0_E_clISt17integral_constantIbLb0EESX_EEDaSS_ST_EUlSS_E_NS1_11comp_targetILNS1_3genE5ELNS1_11target_archE942ELNS1_3gpuE9ELNS1_3repE0EEENS1_30default_config_static_selectorELNS0_4arch9wavefront6targetE1EEEvT1_
	.p2align	8
	.type	_ZN7rocprim17ROCPRIM_400000_NS6detail17trampoline_kernelINS0_14default_configENS1_20scan_config_selectorIfEEZZNS1_9scan_implILNS1_25lookback_scan_determinismE0ELb1ELb1ES3_N6thrust23THRUST_200600_302600_NS6detail15normal_iteratorINS9_10device_ptrIKfEEEENSB_INSC_IfEEEEfNS9_4plusIvEEfEEDaPvRmT3_T4_T5_mT6_P12ihipStream_tbENKUlT_T0_E_clISt17integral_constantIbLb0EESX_EEDaSS_ST_EUlSS_E_NS1_11comp_targetILNS1_3genE5ELNS1_11target_archE942ELNS1_3gpuE9ELNS1_3repE0EEENS1_30default_config_static_selectorELNS0_4arch9wavefront6targetE1EEEvT1_,@function
_ZN7rocprim17ROCPRIM_400000_NS6detail17trampoline_kernelINS0_14default_configENS1_20scan_config_selectorIfEEZZNS1_9scan_implILNS1_25lookback_scan_determinismE0ELb1ELb1ES3_N6thrust23THRUST_200600_302600_NS6detail15normal_iteratorINS9_10device_ptrIKfEEEENSB_INSC_IfEEEEfNS9_4plusIvEEfEEDaPvRmT3_T4_T5_mT6_P12ihipStream_tbENKUlT_T0_E_clISt17integral_constantIbLb0EESX_EEDaSS_ST_EUlSS_E_NS1_11comp_targetILNS1_3genE5ELNS1_11target_archE942ELNS1_3gpuE9ELNS1_3repE0EEENS1_30default_config_static_selectorELNS0_4arch9wavefront6targetE1EEEvT1_: ; @_ZN7rocprim17ROCPRIM_400000_NS6detail17trampoline_kernelINS0_14default_configENS1_20scan_config_selectorIfEEZZNS1_9scan_implILNS1_25lookback_scan_determinismE0ELb1ELb1ES3_N6thrust23THRUST_200600_302600_NS6detail15normal_iteratorINS9_10device_ptrIKfEEEENSB_INSC_IfEEEEfNS9_4plusIvEEfEEDaPvRmT3_T4_T5_mT6_P12ihipStream_tbENKUlT_T0_E_clISt17integral_constantIbLb0EESX_EEDaSS_ST_EUlSS_E_NS1_11comp_targetILNS1_3genE5ELNS1_11target_archE942ELNS1_3gpuE9ELNS1_3repE0EEENS1_30default_config_static_selectorELNS0_4arch9wavefront6targetE1EEEvT1_
; %bb.0:
	s_load_dwordx8 s[12:19], s[0:1], 0x0
	s_load_dword s3, s[0:1], 0x30
	s_mul_i32 s4, s2, 0x1800
	s_mov_b32 s5, 0
	v_lshlrev_b32_e32 v30, 2, v0
	s_waitcnt lgkmcnt(0)
	s_lshl_b64 s[22:23], s[14:15], 2
	s_add_u32 s30, s12, s22
	s_addc_u32 s31, s13, s23
	s_add_i32 s3, s3, -1
	s_mul_i32 s6, s3, 0x1800
	s_sub_u32 s28, s18, s6
	s_subb_u32 s29, s19, 0
	s_cmp_lg_u32 s2, s3
	s_cselect_b64 s[18:19], -1, 0
	s_lshl_b64 s[20:21], s[4:5], 2
	s_add_u32 s6, s30, s20
	s_addc_u32 s7, s31, s21
	s_mov_b64 s[4:5], -1
	s_and_b64 vcc, exec, s[18:19]
	s_cbranch_vccz .LBB3_2
; %bb.1:
	v_mov_b32_e32 v31, 0
	v_lshl_add_u64 v[2:3], s[6:7], 0, v[30:31]
	v_add_co_u32_e32 v4, vcc, 0x1000, v2
	s_mov_b64 s[4:5], 0
	s_nop 0
	v_addc_co_u32_e32 v5, vcc, 0, v3, vcc
	flat_load_dword v1, v[2:3]
	flat_load_dword v8, v[2:3] offset:1024
	flat_load_dword v9, v[2:3] offset:2048
	;; [unrolled: 1-line block ×3, first 2 shown]
	flat_load_dword v11, v[4:5]
	flat_load_dword v12, v[4:5] offset:1024
	flat_load_dword v13, v[4:5] offset:2048
	;; [unrolled: 1-line block ×3, first 2 shown]
	v_add_co_u32_e32 v4, vcc, 0x2000, v2
	s_nop 1
	v_addc_co_u32_e32 v5, vcc, 0, v3, vcc
	v_add_co_u32_e32 v6, vcc, 0x3000, v2
	s_nop 1
	v_addc_co_u32_e32 v7, vcc, 0, v3, vcc
	flat_load_dword v15, v[4:5]
	flat_load_dword v16, v[4:5] offset:1024
	flat_load_dword v17, v[4:5] offset:2048
	;; [unrolled: 1-line block ×3, first 2 shown]
	flat_load_dword v19, v[6:7]
	flat_load_dword v20, v[6:7] offset:1024
	flat_load_dword v21, v[6:7] offset:2048
	;; [unrolled: 1-line block ×3, first 2 shown]
	v_add_co_u32_e32 v4, vcc, 0x4000, v2
	s_nop 1
	v_addc_co_u32_e32 v5, vcc, 0, v3, vcc
	v_add_co_u32_e32 v2, vcc, 0x5000, v2
	s_nop 1
	v_addc_co_u32_e32 v3, vcc, 0, v3, vcc
	flat_load_dword v6, v[4:5]
	flat_load_dword v7, v[4:5] offset:1024
	flat_load_dword v23, v[4:5] offset:2048
	;; [unrolled: 1-line block ×3, first 2 shown]
	flat_load_dword v25, v[2:3]
	flat_load_dword v26, v[2:3] offset:1024
	flat_load_dword v27, v[2:3] offset:2048
	;; [unrolled: 1-line block ×3, first 2 shown]
	s_waitcnt vmcnt(0) lgkmcnt(0)
	ds_write2st64_b32 v30, v1, v8 offset1:4
	ds_write2st64_b32 v30, v9, v10 offset0:8 offset1:12
	ds_write2st64_b32 v30, v11, v12 offset0:16 offset1:20
	;; [unrolled: 1-line block ×11, first 2 shown]
	s_waitcnt lgkmcnt(0)
	s_barrier
.LBB3_2:
	s_load_dwordx2 s[24:25], s[0:1], 0x28
	s_andn2_b64 vcc, exec, s[4:5]
	v_cmp_gt_u32_e64 s[4:5], s28, v0
	s_cbranch_vccnz .LBB3_52
; %bb.3:
	v_mov_b64_e32 v[2:3], s[6:7]
	flat_load_dword v1, v[2:3]
	s_waitcnt vmcnt(0) lgkmcnt(0)
	v_mov_b32_e32 v2, v1
	s_and_saveexec_b64 s[8:9], s[4:5]
	s_cbranch_execz .LBB3_5
; %bb.4:
	v_mov_b32_e32 v31, 0
	v_lshl_add_u64 v[2:3], s[6:7], 0, v[30:31]
	flat_load_dword v2, v[2:3]
.LBB3_5:
	s_or_b64 exec, exec, s[8:9]
	v_or_b32_e32 v3, 0x100, v0
	v_cmp_gt_u32_e32 vcc, s28, v3
	v_mov_b32_e32 v3, v1
	s_and_saveexec_b64 s[4:5], vcc
	s_cbranch_execz .LBB3_7
; %bb.6:
	v_mov_b32_e32 v31, 0
	v_lshl_add_u64 v[4:5], s[6:7], 0, v[30:31]
	flat_load_dword v3, v[4:5] offset:1024
.LBB3_7:
	s_or_b64 exec, exec, s[4:5]
	v_or_b32_e32 v4, 0x200, v0
	v_cmp_gt_u32_e32 vcc, s28, v4
	v_mov_b32_e32 v4, v1
	s_and_saveexec_b64 s[4:5], vcc
	s_cbranch_execz .LBB3_9
; %bb.8:
	v_mov_b32_e32 v31, 0
	v_lshl_add_u64 v[4:5], s[6:7], 0, v[30:31]
	flat_load_dword v4, v[4:5] offset:2048
.LBB3_9:
	;; [unrolled: 11-line block ×3, first 2 shown]
	s_or_b64 exec, exec, s[4:5]
	v_or_b32_e32 v7, 0x400, v0
	v_cmp_gt_u32_e32 vcc, s28, v7
	v_mov_b32_e32 v6, v1
	s_and_saveexec_b64 s[4:5], vcc
	s_cbranch_execz .LBB3_13
; %bb.12:
	v_lshlrev_b32_e32 v6, 2, v7
	v_mov_b32_e32 v7, 0
	v_lshl_add_u64 v[6:7], s[6:7], 0, v[6:7]
	flat_load_dword v6, v[6:7]
.LBB3_13:
	s_or_b64 exec, exec, s[4:5]
	v_or_b32_e32 v8, 0x500, v0
	v_cmp_gt_u32_e32 vcc, s28, v8
	v_mov_b32_e32 v7, v1
	s_and_saveexec_b64 s[4:5], vcc
	s_cbranch_execz .LBB3_15
; %bb.14:
	v_lshlrev_b32_e32 v8, 2, v8
	v_mov_b32_e32 v9, 0
	v_lshl_add_u64 v[8:9], s[6:7], 0, v[8:9]
	flat_load_dword v7, v[8:9]
.LBB3_15:
	;; [unrolled: 12-line block ×19, first 2 shown]
	s_or_b64 exec, exec, s[4:5]
	v_or_b32_e32 v25, 0x1700, v0
	v_cmp_gt_u32_e32 vcc, s28, v25
	s_and_saveexec_b64 s[4:5], vcc
	s_cbranch_execz .LBB3_51
; %bb.50:
	v_lshlrev_b32_e32 v26, 2, v25
	v_mov_b32_e32 v27, 0
	v_lshl_add_u64 v[26:27], s[6:7], 0, v[26:27]
	flat_load_dword v1, v[26:27]
.LBB3_51:
	s_or_b64 exec, exec, s[4:5]
	s_waitcnt vmcnt(0) lgkmcnt(0)
	ds_write2st64_b32 v30, v2, v3 offset1:4
	ds_write2st64_b32 v30, v4, v5 offset0:8 offset1:12
	ds_write2st64_b32 v30, v6, v7 offset0:16 offset1:20
	;; [unrolled: 1-line block ×11, first 2 shown]
	s_waitcnt lgkmcnt(0)
	s_barrier
.LBB3_52:
	v_mul_u32_u24_e32 v38, 24, v0
	v_lshlrev_b32_e32 v1, 2, v38
	s_waitcnt lgkmcnt(0)
	ds_read_b128 v[22:25], v1
	ds_read_b128 v[18:21], v1 offset:16
	ds_read_b128 v[14:17], v1 offset:32
	;; [unrolled: 1-line block ×5, first 2 shown]
	s_waitcnt lgkmcnt(5)
	v_add_f32_e32 v26, v22, v23
	s_cmp_lg_u32 s2, 0
	v_add_f32_e32 v39, v26, v24
	v_lshrrev_b32_e32 v31, 5, v0
	v_cmp_gt_u32_e32 vcc, 64, v0
	s_waitcnt lgkmcnt(0)
	s_barrier
	s_cbranch_scc0 .LBB3_77
; %bb.53:
	v_add_f32_e32 v26, v39, v25
	v_add_f32_e32 v26, v26, v18
	;; [unrolled: 1-line block ×21, first 2 shown]
	v_add_lshl_u32 v26, v31, v0, 2
	ds_write_b32 v26, v40
	s_waitcnt lgkmcnt(0)
	s_barrier
	s_and_saveexec_b64 s[10:11], vcc
	s_cbranch_execz .LBB3_55
; %bb.54:
	v_lshrrev_b32_e32 v26, 3, v0
	v_add_lshl_u32 v32, v26, v30, 2
	ds_read2_b32 v[26:27], v32 offset1:1
	ds_read2_b32 v[28:29], v32 offset0:2 offset1:3
	v_mbcnt_lo_u32_b32 v33, -1, 0
	v_mbcnt_hi_u32_b32 v33, -1, v33
	v_and_b32_e32 v34, 15, v33
	s_waitcnt lgkmcnt(1)
	v_add_f32_e32 v27, v26, v27
	s_waitcnt lgkmcnt(0)
	v_add_f32_e32 v27, v27, v28
	v_add_f32_e32 v27, v27, v29
	v_cmp_eq_u32_e64 s[4:5], 0, v34
	v_cmp_lt_u32_e64 s[6:7], 3, v34
	v_mov_b32_dpp v28, v27 row_shr:1 row_mask:0xf bank_mask:0xf
	v_add_f32_e32 v28, v27, v28
	v_cndmask_b32_e64 v27, v28, v27, s[4:5]
	v_cmp_lt_u32_e64 s[4:5], 1, v34
	v_cmp_lt_u32_e64 s[8:9], 31, v33
	v_mov_b32_dpp v28, v27 row_shr:2 row_mask:0xf bank_mask:0xf
	v_add_f32_e32 v28, v27, v28
	v_cndmask_b32_e64 v28, v27, v28, s[4:5]
	; wave barrier
	s_nop 1
	v_mov_b32_dpp v29, v28 row_shr:4 row_mask:0xf bank_mask:0xf
	v_add_f32_e32 v29, v28, v29
	v_cndmask_b32_e64 v28, v28, v29, s[6:7]
	v_cmp_lt_u32_e64 s[6:7], 7, v34
	v_and_b32_e32 v34, 16, v33
	v_mov_b32_dpp v29, v28 row_shr:8 row_mask:0xf bank_mask:0xf
	v_add_f32_e32 v29, v28, v29
	v_cndmask_b32_e64 v28, v28, v29, s[6:7]
	v_cmp_eq_u32_e64 s[6:7], 0, v34
	s_nop 0
	v_mov_b32_dpp v29, v28 row_bcast:15 row_mask:0xf bank_mask:0xf
	v_add_f32_e32 v29, v28, v29
	v_cndmask_b32_e64 v28, v29, v28, s[6:7]
	v_cmp_lt_u32_e64 s[6:7], 15, v33
	s_or_b64 s[4:5], s[6:7], s[4:5]
	v_mov_b32_dpp v29, v28 row_bcast:31 row_mask:0xf bank_mask:0xf
	v_add_f32_e32 v29, v28, v29
	v_cndmask_b32_e64 v28, v28, v29, s[8:9]
	v_cndmask_b32_e64 v27, v27, v28, s[4:5]
	v_add_u32_e32 v28, -1, v33
	v_and_b32_e32 v29, 64, v33
	v_cmp_lt_i32_e64 s[4:5], v28, v29
	s_nop 1
	v_cndmask_b32_e64 v28, v28, v33, s[4:5]
	v_lshlrev_b32_e32 v28, 2, v28
	ds_bpermute_b32 v27, v28, v27
	v_cmp_eq_u32_e64 s[4:5], 0, v0
	s_waitcnt lgkmcnt(0)
	v_add_f32_e32 v26, v26, v27
	v_cndmask_b32_e64 v28, v26, v40, s[4:5]
	ds_write_b32 v32, v28
	; wave barrier
	ds_read2_b32 v[26:27], v32 offset0:1 offset1:2
	ds_read_b32 v29, v32 offset:12
	s_waitcnt lgkmcnt(1)
	v_add_f32_e32 v26, v28, v26
	v_add_f32_e32 v27, v26, v27
	ds_write2_b32 v32, v26, v27 offset0:1 offset1:2
	s_waitcnt lgkmcnt(1)
	v_add_f32_e32 v26, v27, v29
	ds_write_b32 v32, v26 offset:12
.LBB3_55:
	s_or_b64 exec, exec, s[10:11]
	v_cmp_eq_u32_e64 s[6:7], 0, v0
	v_cmp_ne_u32_e64 s[4:5], 0, v0
	s_waitcnt lgkmcnt(0)
	s_barrier
	s_and_saveexec_b64 s[8:9], s[4:5]
	s_cbranch_execz .LBB3_57
; %bb.56:
	v_add_u32_e32 v26, -1, v0
	v_lshrrev_b32_e32 v27, 5, v26
	v_add_lshl_u32 v26, v27, v26, 2
	ds_read_b32 v40, v26
.LBB3_57:
	s_or_b64 exec, exec, s[8:9]
	s_and_saveexec_b64 s[26:27], vcc
	s_cbranch_execz .LBB3_76
; %bb.58:
	v_mov_b32_e32 v35, 0
	ds_read_b32 v26, v35 offset:1048
	v_mbcnt_lo_u32_b32 v27, -1, 0
	v_mbcnt_hi_u32_b32 v29, -1, v27
	s_mov_b32 s11, 0
	v_cmp_eq_u32_e64 s[4:5], 0, v29
	s_and_saveexec_b64 s[8:9], s[4:5]
	s_cbranch_execz .LBB3_60
; %bb.59:
	s_add_i32 s10, s2, 64
	s_lshl_b64 s[10:11], s[10:11], 3
	s_add_u32 s10, s24, s10
	v_mov_b32_e32 v27, 1
	s_addc_u32 s11, s25, s11
	s_waitcnt lgkmcnt(0)
	global_store_dwordx2 v35, v[26:27], s[10:11] sc1
.LBB3_60:
	s_or_b64 exec, exec, s[8:9]
	v_xad_u32 v28, v29, -1, s2
	v_add_u32_e32 v34, 64, v28
	v_lshl_add_u64 v[36:37], v[34:35], 3, s[24:25]
	global_load_dwordx2 v[32:33], v[36:37], off sc1
	s_waitcnt vmcnt(0)
	v_cmp_eq_u16_sdwa s[10:11], v33, v35 src0_sel:BYTE_0 src1_sel:DWORD
	s_and_saveexec_b64 s[8:9], s[10:11]
	s_cbranch_execz .LBB3_64
; %bb.61:
	s_mov_b64 s[10:11], 0
	v_mov_b32_e32 v27, 0
.LBB3_62:                               ; =>This Inner Loop Header: Depth=1
	global_load_dwordx2 v[32:33], v[36:37], off sc1
	s_waitcnt vmcnt(0)
	v_cmp_ne_u16_sdwa s[12:13], v33, v27 src0_sel:BYTE_0 src1_sel:DWORD
	s_or_b64 s[10:11], s[12:13], s[10:11]
	s_andn2_b64 exec, exec, s[10:11]
	s_cbranch_execnz .LBB3_62
; %bb.63:
	s_or_b64 exec, exec, s[10:11]
.LBB3_64:
	s_or_b64 exec, exec, s[8:9]
	v_and_b32_e32 v41, 63, v29
	v_cmp_ne_u32_e32 vcc, 63, v41
	v_mov_b32_e32 v27, 2
	v_cmp_eq_u16_sdwa s[8:9], v33, v27 src0_sel:BYTE_0 src1_sel:DWORD
	v_addc_co_u32_e32 v42, vcc, 0, v29, vcc
	v_lshlrev_b32_e32 v42, 2, v42
	v_lshlrev_b64 v[34:35], v29, -1
	ds_bpermute_b32 v43, v42, v32
	v_and_b32_e32 v36, s9, v35
	v_or_b32_e32 v36, 0x80000000, v36
	v_and_b32_e32 v37, s8, v34
	v_ffbl_b32_e32 v36, v36
	v_add_u32_e32 v36, 32, v36
	v_ffbl_b32_e32 v37, v37
	v_cmp_gt_u32_e64 s[8:9], 62, v41
	v_min_u32_e32 v36, v37, v36
	s_waitcnt lgkmcnt(0)
	v_add_f32_e32 v37, v32, v43
	v_cndmask_b32_e64 v43, 0, 1, s[8:9]
	v_cmp_lt_u32_e32 vcc, v41, v36
	v_lshlrev_b32_e32 v43, 1, v43
	v_add_lshl_u32 v43, v43, v29, 2
	v_cndmask_b32_e32 v37, v32, v37, vcc
	ds_bpermute_b32 v45, v43, v37
	v_add_u32_e32 v44, 2, v41
	v_cmp_gt_u32_e64 s[8:9], v44, v36
	v_cmp_gt_u32_e64 s[10:11], 56, v41
	v_add_u32_e32 v46, 4, v41
	s_waitcnt lgkmcnt(0)
	v_add_f32_e32 v45, v37, v45
	v_cndmask_b32_e64 v37, v45, v37, s[8:9]
	v_cmp_gt_u32_e64 s[8:9], 60, v41
	v_add_u32_e32 v48, 8, v41
	v_cmp_gt_u32_e64 s[12:13], 48, v41
	v_cndmask_b32_e64 v45, 0, 1, s[8:9]
	v_lshlrev_b32_e32 v45, 2, v45
	v_add_lshl_u32 v45, v45, v29, 2
	ds_bpermute_b32 v47, v45, v37
	v_cmp_gt_u32_e64 s[8:9], v46, v36
	v_cmp_gt_u32_e64 s[14:15], 32, v41
	v_cndmask_b32_e32 v32, v32, v37, vcc
	s_waitcnt lgkmcnt(0)
	v_add_f32_e32 v51, v37, v47
	v_cndmask_b32_e64 v47, 0, 1, s[10:11]
	v_lshlrev_b32_e32 v47, 3, v47
	v_cndmask_b32_e64 v49, v51, v37, s[8:9]
	v_add_lshl_u32 v47, v47, v29, 2
	ds_bpermute_b32 v50, v47, v49
	v_cmp_gt_u32_e64 s[10:11], v48, v36
	v_cndmask_b32_e64 v32, v51, v32, s[8:9]
	s_waitcnt lgkmcnt(0)
	v_add_f32_e32 v54, v49, v50
	v_cndmask_b32_e64 v52, v54, v49, s[10:11]
	v_cndmask_b32_e64 v49, 0, 1, s[12:13]
	v_lshlrev_b32_e32 v49, 4, v49
	v_add_lshl_u32 v49, v49, v29, 2
	ds_bpermute_b32 v53, v49, v52
	v_add_u32_e32 v50, 16, v41
	v_cmp_gt_u32_e64 s[12:13], v50, v36
	v_cndmask_b32_e64 v32, v54, v32, s[10:11]
	s_waitcnt lgkmcnt(0)
	v_add_f32_e32 v55, v52, v53
	v_cndmask_b32_e64 v56, v55, v52, s[12:13]
	v_cndmask_b32_e64 v52, 0, 1, s[14:15]
	v_lshlrev_b32_e32 v52, 5, v52
	v_add_lshl_u32 v52, v52, v29, 2
	ds_bpermute_b32 v29, v52, v56
	v_add_u32_e32 v53, 32, v41
	v_cndmask_b32_e64 v32, v55, v32, s[12:13]
	v_cmp_gt_u32_e32 vcc, v53, v36
	s_waitcnt lgkmcnt(0)
	v_add_f32_e32 v29, v56, v29
	v_cndmask_b32_e32 v32, v29, v32, vcc
	v_mov_b32_e32 v29, 0
	s_branch .LBB3_66
.LBB3_65:                               ;   in Loop: Header=BB3_66 Depth=1
	s_or_b64 exec, exec, s[8:9]
	v_cmp_eq_u16_sdwa s[8:9], v33, v27 src0_sel:BYTE_0 src1_sel:DWORD
	ds_bpermute_b32 v54, v42, v32
	v_subrev_u32_e32 v28, 64, v28
	v_and_b32_e32 v36, s9, v35
	v_or_b32_e32 v36, 0x80000000, v36
	v_and_b32_e32 v37, s8, v34
	v_ffbl_b32_e32 v36, v36
	v_add_u32_e32 v36, 32, v36
	v_ffbl_b32_e32 v37, v37
	v_min_u32_e32 v36, v37, v36
	s_waitcnt lgkmcnt(0)
	v_add_f32_e32 v37, v32, v54
	v_cmp_lt_u32_e32 vcc, v41, v36
	v_cmp_gt_u32_e64 s[8:9], v44, v36
	v_cmp_gt_u32_e64 s[10:11], v48, v36
	v_cndmask_b32_e32 v37, v32, v37, vcc
	ds_bpermute_b32 v54, v43, v37
	v_cmp_gt_u32_e64 s[12:13], v50, v36
	s_waitcnt lgkmcnt(0)
	v_add_f32_e32 v54, v37, v54
	v_cndmask_b32_e64 v37, v54, v37, s[8:9]
	ds_bpermute_b32 v54, v45, v37
	v_cmp_gt_u32_e64 s[8:9], v46, v36
	v_cndmask_b32_e32 v32, v32, v37, vcc
	v_cmp_gt_u32_e32 vcc, v53, v36
	s_waitcnt lgkmcnt(0)
	v_add_f32_e32 v54, v37, v54
	v_cndmask_b32_e64 v55, v54, v37, s[8:9]
	ds_bpermute_b32 v56, v47, v55
	v_cndmask_b32_e64 v32, v54, v32, s[8:9]
	s_waitcnt lgkmcnt(0)
	v_add_f32_e32 v56, v55, v56
	v_cndmask_b32_e64 v55, v56, v55, s[10:11]
	ds_bpermute_b32 v57, v49, v55
	v_cndmask_b32_e64 v32, v56, v32, s[10:11]
	;; [unrolled: 5-line block ×3, first 2 shown]
	s_waitcnt lgkmcnt(0)
	v_add_f32_e32 v37, v55, v58
	v_cndmask_b32_e32 v32, v37, v32, vcc
	v_add_f32_e32 v32, v51, v32
.LBB3_66:                               ; =>This Loop Header: Depth=1
                                        ;     Child Loop BB3_69 Depth 2
	v_cmp_ne_u16_sdwa s[8:9], v33, v27 src0_sel:BYTE_0 src1_sel:DWORD
	v_mov_b32_e32 v51, v32
	s_nop 0
	v_cndmask_b32_e64 v33, 0, 1, s[8:9]
	;;#ASMSTART
	;;#ASMEND
	s_nop 0
	v_cmp_ne_u32_e32 vcc, 0, v33
	s_cmp_lg_u64 vcc, exec
	s_cbranch_scc1 .LBB3_71
; %bb.67:                               ;   in Loop: Header=BB3_66 Depth=1
	v_lshl_add_u64 v[36:37], v[28:29], 3, s[24:25]
	global_load_dwordx2 v[32:33], v[36:37], off sc1
	s_waitcnt vmcnt(0)
	v_cmp_eq_u16_sdwa s[10:11], v33, v29 src0_sel:BYTE_0 src1_sel:DWORD
	s_and_saveexec_b64 s[8:9], s[10:11]
	s_cbranch_execz .LBB3_65
; %bb.68:                               ;   in Loop: Header=BB3_66 Depth=1
	s_mov_b64 s[10:11], 0
.LBB3_69:                               ;   Parent Loop BB3_66 Depth=1
                                        ; =>  This Inner Loop Header: Depth=2
	global_load_dwordx2 v[32:33], v[36:37], off sc1
	s_waitcnt vmcnt(0)
	v_cmp_ne_u16_sdwa s[12:13], v33, v29 src0_sel:BYTE_0 src1_sel:DWORD
	s_or_b64 s[10:11], s[12:13], s[10:11]
	s_andn2_b64 exec, exec, s[10:11]
	s_cbranch_execnz .LBB3_69
; %bb.70:                               ;   in Loop: Header=BB3_66 Depth=1
	s_or_b64 exec, exec, s[10:11]
	s_branch .LBB3_65
.LBB3_71:                               ;   in Loop: Header=BB3_66 Depth=1
                                        ; implicit-def: $vgpr32
                                        ; implicit-def: $vgpr33
	s_cbranch_execz .LBB3_66
; %bb.72:
	s_and_saveexec_b64 s[8:9], s[4:5]
	s_cbranch_execz .LBB3_74
; %bb.73:
	s_add_i32 s2, s2, 64
	s_mov_b32 s3, 0
	s_lshl_b64 s[2:3], s[2:3], 3
	s_add_u32 s2, s24, s2
	v_add_f32_e32 v26, v26, v51
	v_mov_b32_e32 v27, 2
	s_addc_u32 s3, s25, s3
	v_mov_b32_e32 v28, 0
	global_store_dwordx2 v28, v[26:27], s[2:3] sc1
.LBB3_74:
	s_or_b64 exec, exec, s[8:9]
	s_and_b64 exec, exec, s[6:7]
	s_cbranch_execz .LBB3_76
; %bb.75:
	v_mov_b32_e32 v26, 0
	ds_write_b32 v26, v51
.LBB3_76:
	s_or_b64 exec, exec, s[26:27]
	v_mov_b32_e32 v26, 0
	s_waitcnt lgkmcnt(0)
	s_barrier
	ds_read_b32 v26, v26
	s_waitcnt lgkmcnt(0)
	v_add_f32_e32 v27, v40, v26
	v_cndmask_b32_e64 v26, v27, v26, s[6:7]
	s_load_dwordx8 s[4:11], s[0:1], 0x38
	s_branch .LBB3_87
.LBB3_77:
                                        ; implicit-def: $vgpr26
	s_load_dwordx8 s[4:11], s[0:1], 0x38
	s_cbranch_execz .LBB3_87
; %bb.78:
	s_load_dword s0, s[0:1], 0x20
	s_waitcnt lgkmcnt(0)
	s_cmp_eq_u64 s[8:9], 0
	v_mov_b32_e32 v27, s0
	s_cbranch_scc1 .LBB3_80
; %bb.79:
	v_mov_b32_e32 v27, s31
	v_add_co_u32_e64 v26, vcc, -4, s30
	v_mov_b32_e32 v28, 0
	s_nop 0
	v_addc_co_u32_e32 v27, vcc, -1, v27, vcc
	flat_load_dword v29, v[26:27]
	global_load_dword v32, v28, s[4:5]
	s_waitcnt vmcnt(0) lgkmcnt(0)
	v_add_f32_e32 v27, v29, v32
.LBB3_80:
	v_add_f32_e32 v26, v39, v25
	v_add_f32_e32 v26, v26, v18
	;; [unrolled: 1-line block ×21, first 2 shown]
	v_add_lshl_u32 v26, v31, v0, 2
	v_cmp_gt_u32_e32 vcc, 64, v0
	ds_write_b32 v26, v5
	s_waitcnt lgkmcnt(0)
	s_barrier
	s_and_saveexec_b64 s[4:5], vcc
	s_cbranch_execz .LBB3_82
; %bb.81:
	v_lshrrev_b32_e32 v26, 3, v0
	v_add_lshl_u32 v26, v26, v30, 2
	ds_read2_b32 v[28:29], v26 offset1:1
	ds_read2_b32 v[32:33], v26 offset0:2 offset1:3
	v_mbcnt_lo_u32_b32 v31, -1, 0
	v_mbcnt_hi_u32_b32 v31, -1, v31
	v_and_b32_e32 v34, 15, v31
	s_waitcnt lgkmcnt(1)
	v_add_f32_e32 v29, v28, v29
	s_waitcnt lgkmcnt(0)
	v_add_f32_e32 v29, v29, v32
	v_add_f32_e32 v29, v29, v33
	v_cmp_eq_u32_e32 vcc, 0, v34
	v_cmp_lt_u32_e64 s[0:1], 3, v34
	v_mov_b32_dpp v32, v29 row_shr:1 row_mask:0xf bank_mask:0xf
	v_add_f32_e32 v32, v29, v32
	v_cndmask_b32_e32 v29, v32, v29, vcc
	v_cmp_lt_u32_e32 vcc, 1, v34
	v_cmp_lt_u32_e64 s[2:3], 31, v31
	v_mov_b32_dpp v32, v29 row_shr:2 row_mask:0xf bank_mask:0xf
	v_add_f32_e32 v32, v29, v32
	v_cndmask_b32_e32 v32, v29, v32, vcc
	; wave barrier
	s_nop 1
	v_mov_b32_dpp v33, v32 row_shr:4 row_mask:0xf bank_mask:0xf
	v_add_f32_e32 v33, v32, v33
	v_cndmask_b32_e64 v32, v32, v33, s[0:1]
	v_cmp_lt_u32_e64 s[0:1], 7, v34
	v_and_b32_e32 v34, 16, v31
	v_mov_b32_dpp v33, v32 row_shr:8 row_mask:0xf bank_mask:0xf
	v_add_f32_e32 v33, v32, v33
	v_cndmask_b32_e64 v32, v32, v33, s[0:1]
	v_cmp_eq_u32_e64 s[0:1], 0, v34
	s_nop 0
	v_mov_b32_dpp v33, v32 row_bcast:15 row_mask:0xf bank_mask:0xf
	v_add_f32_e32 v33, v32, v33
	v_cndmask_b32_e64 v32, v33, v32, s[0:1]
	v_cmp_lt_u32_e64 s[0:1], 15, v31
	s_or_b64 vcc, s[0:1], vcc
	v_mov_b32_dpp v33, v32 row_bcast:31 row_mask:0xf bank_mask:0xf
	v_add_f32_e32 v33, v32, v33
	v_cndmask_b32_e64 v32, v32, v33, s[2:3]
	v_cndmask_b32_e32 v29, v29, v32, vcc
	v_add_u32_e32 v32, -1, v31
	v_and_b32_e32 v33, 64, v31
	v_cmp_lt_i32_e32 vcc, v32, v33
	s_nop 1
	v_cndmask_b32_e32 v31, v32, v31, vcc
	v_lshlrev_b32_e32 v31, 2, v31
	ds_bpermute_b32 v29, v31, v29
	v_cmp_eq_u32_e32 vcc, 0, v0
	s_waitcnt lgkmcnt(0)
	v_add_f32_e32 v28, v28, v29
	v_cndmask_b32_e32 v5, v28, v5, vcc
	ds_write_b32 v26, v5
	; wave barrier
	ds_read2_b32 v[28:29], v26 offset0:1 offset1:2
	ds_read_b32 v31, v26 offset:12
	s_waitcnt lgkmcnt(1)
	v_add_f32_e32 v5, v5, v28
	v_add_f32_e32 v28, v5, v29
	ds_write2_b32 v26, v5, v28 offset0:1 offset1:2
	s_waitcnt lgkmcnt(1)
	v_add_f32_e32 v5, v28, v31
	ds_write_b32 v26, v5 offset:12
.LBB3_82:
	s_or_b64 exec, exec, s[4:5]
	v_cmp_eq_u32_e32 vcc, 0, v0
	v_cmp_ne_u32_e64 s[0:1], 0, v0
	v_mov_b32_e32 v26, v27
	s_waitcnt lgkmcnt(0)
	s_barrier
	s_and_saveexec_b64 s[2:3], s[0:1]
	s_cbranch_execz .LBB3_84
; %bb.83:
	v_add_u32_e32 v5, -1, v0
	v_lshrrev_b32_e32 v26, 5, v5
	v_add_lshl_u32 v5, v26, v5, 2
	ds_read_b32 v5, v5
	s_waitcnt lgkmcnt(0)
	v_add_f32_e32 v26, v27, v5
.LBB3_84:
	s_or_b64 exec, exec, s[2:3]
	s_and_saveexec_b64 s[0:1], vcc
	s_cbranch_execz .LBB3_86
; %bb.85:
	v_mov_b32_e32 v5, 0
	ds_read_b32 v28, v5 offset:1048
	v_mov_b32_e32 v29, 2
	s_waitcnt lgkmcnt(0)
	v_add_f32_e32 v28, v27, v28
	global_store_dwordx2 v5, v[28:29], s[24:25] offset:512 sc1
.LBB3_86:
	s_or_b64 exec, exec, s[0:1]
.LBB3_87:
	v_add_f32_e32 v27, v22, v26
	v_add_f32_e32 v28, v23, v27
	;; [unrolled: 1-line block ×19, first 2 shown]
	s_add_u32 s0, s16, s22
	v_add_f32_e32 v6, v9, v13
	s_addc_u32 s1, s17, s23
	v_add_f32_e32 v7, v2, v6
	v_add_f32_e32 v8, v3, v7
	s_add_u32 s0, s0, s20
	v_add_f32_e32 v9, v4, v8
	s_addc_u32 s1, s1, s21
	s_mov_b64 s[2:3], -1
	s_and_b64 vcc, exec, s[18:19]
	s_waitcnt lgkmcnt(0)
	s_barrier
	s_cbranch_vccz .LBB3_89
; %bb.88:
	v_mov_b32_e32 v31, 0
	ds_write_b128 v1, v[26:29]
	ds_write_b128 v1, v[22:25] offset:16
	ds_write_b128 v1, v[18:21] offset:32
	;; [unrolled: 1-line block ×5, first 2 shown]
	s_waitcnt lgkmcnt(0)
	s_barrier
	ds_read2st64_b32 v[2:3], v30 offset1:4
	ds_read2st64_b32 v[4:5], v30 offset0:8 offset1:12
	ds_read2st64_b32 v[32:33], v30 offset0:16 offset1:20
	ds_read2st64_b32 v[34:35], v30 offset0:24 offset1:28
	ds_read2st64_b32 v[36:37], v30 offset0:32 offset1:36
	ds_read2st64_b32 v[40:41], v30 offset0:40 offset1:44
	ds_read2st64_b32 v[42:43], v30 offset0:48 offset1:52
	ds_read2st64_b32 v[44:45], v30 offset0:56 offset1:60
	ds_read2st64_b32 v[46:47], v30 offset0:64 offset1:68
	ds_read2st64_b32 v[48:49], v30 offset0:72 offset1:76
	ds_read2st64_b32 v[50:51], v30 offset0:80 offset1:84
	ds_read2st64_b32 v[52:53], v30 offset0:88 offset1:92
	v_lshl_add_u64 v[54:55], s[0:1], 0, v[30:31]
	s_movk_i32 s2, 0x1000
	s_waitcnt lgkmcnt(11)
	flat_store_dword v[54:55], v2
	flat_store_dword v[54:55], v3 offset:1024
	s_waitcnt lgkmcnt(0)
	flat_store_dword v[54:55], v4 offset:2048
	flat_store_dword v[54:55], v5 offset:3072
	v_add_co_u32_e32 v2, vcc, s2, v54
	s_movk_i32 s2, 0x2000
	s_nop 0
	v_addc_co_u32_e32 v3, vcc, 0, v55, vcc
	flat_store_dword v[2:3], v32
	flat_store_dword v[2:3], v33 offset:1024
	flat_store_dword v[2:3], v34 offset:2048
	flat_store_dword v[2:3], v35 offset:3072
	v_add_co_u32_e32 v2, vcc, s2, v54
	s_movk_i32 s2, 0x3000
	s_nop 0
	v_addc_co_u32_e32 v3, vcc, 0, v55, vcc
	flat_store_dword v[2:3], v36
	flat_store_dword v[2:3], v37 offset:1024
	;; [unrolled: 8-line block ×3, first 2 shown]
	flat_store_dword v[2:3], v44 offset:2048
	flat_store_dword v[2:3], v45 offset:3072
	v_add_co_u32_e32 v2, vcc, s2, v54
	s_mov_b64 s[2:3], 0
	s_nop 0
	v_addc_co_u32_e32 v3, vcc, 0, v55, vcc
	flat_store_dword v[2:3], v46
	flat_store_dword v[2:3], v47 offset:1024
	flat_store_dword v[2:3], v48 offset:2048
	;; [unrolled: 1-line block ×3, first 2 shown]
	v_add_co_u32_e32 v2, vcc, 0x5000, v54
	s_nop 1
	v_addc_co_u32_e32 v3, vcc, 0, v55, vcc
	flat_store_dword v[2:3], v50
	flat_store_dword v[2:3], v51 offset:1024
	flat_store_dword v[2:3], v52 offset:2048
	;; [unrolled: 1-line block ×3, first 2 shown]
.LBB3_89:
	s_andn2_b64 vcc, exec, s[2:3]
	s_cbranch_vccnz .LBB3_146
; %bb.90:
	s_movk_i32 s2, 0xffa4
	ds_write_b128 v1, v[26:29]
	ds_write_b128 v1, v[22:25] offset:16
	ds_write_b128 v1, v[18:21] offset:32
	;; [unrolled: 1-line block ×5, first 2 shown]
	v_mad_i32_i24 v1, v0, s2, v1
	s_waitcnt lgkmcnt(0)
	s_barrier
	ds_read2st64_b32 v[2:3], v1 offset1:4
	ds_read2st64_b32 v[4:5], v1 offset0:8 offset1:12
	ds_read2st64_b32 v[6:7], v1 offset0:16 offset1:20
	;; [unrolled: 1-line block ×11, first 2 shown]
	v_mov_b32_e32 v31, 0
	v_lshl_add_u64 v[26:27], s[0:1], 0, v[30:31]
	v_cmp_gt_u32_e32 vcc, s28, v0
	s_and_saveexec_b64 s[0:1], vcc
	s_cbranch_execz .LBB3_92
; %bb.91:
	s_waitcnt lgkmcnt(0)
	flat_store_dword v[26:27], v2
.LBB3_92:
	s_or_b64 exec, exec, s[0:1]
	v_or_b32_e32 v1, 0x100, v0
	v_cmp_gt_u32_e32 vcc, s28, v1
	s_and_saveexec_b64 s[0:1], vcc
	s_cbranch_execz .LBB3_94
; %bb.93:
	s_waitcnt lgkmcnt(0)
	flat_store_dword v[26:27], v3 offset:1024
.LBB3_94:
	s_or_b64 exec, exec, s[0:1]
	v_or_b32_e32 v1, 0x200, v0
	v_cmp_gt_u32_e32 vcc, s28, v1
	s_and_saveexec_b64 s[0:1], vcc
	s_cbranch_execz .LBB3_96
; %bb.95:
	s_waitcnt lgkmcnt(0)
	flat_store_dword v[26:27], v4 offset:2048
.LBB3_96:
	;; [unrolled: 9-line block ×3, first 2 shown]
	s_or_b64 exec, exec, s[0:1]
	v_or_b32_e32 v1, 0x400, v0
	v_cmp_gt_u32_e32 vcc, s28, v1
	s_and_saveexec_b64 s[0:1], vcc
	s_cbranch_execz .LBB3_100
; %bb.99:
	v_add_co_u32_e32 v28, vcc, 0x1000, v26
	s_nop 1
	v_addc_co_u32_e32 v29, vcc, 0, v27, vcc
	s_waitcnt lgkmcnt(0)
	flat_store_dword v[28:29], v6
.LBB3_100:
	s_or_b64 exec, exec, s[0:1]
	v_or_b32_e32 v1, 0x500, v0
	v_cmp_gt_u32_e32 vcc, s28, v1
	s_and_saveexec_b64 s[0:1], vcc
	s_cbranch_execz .LBB3_102
; %bb.101:
	v_add_co_u32_e32 v28, vcc, 0x1000, v26
	s_nop 1
	v_addc_co_u32_e32 v29, vcc, 0, v27, vcc
	s_waitcnt lgkmcnt(0)
	flat_store_dword v[28:29], v7 offset:1024
.LBB3_102:
	s_or_b64 exec, exec, s[0:1]
	v_or_b32_e32 v1, 0x600, v0
	v_cmp_gt_u32_e32 vcc, s28, v1
	s_and_saveexec_b64 s[0:1], vcc
	s_cbranch_execz .LBB3_104
; %bb.103:
	v_add_co_u32_e32 v28, vcc, 0x1000, v26
	s_nop 1
	v_addc_co_u32_e32 v29, vcc, 0, v27, vcc
	s_waitcnt lgkmcnt(0)
	flat_store_dword v[28:29], v16 offset:2048
.LBB3_104:
	s_or_b64 exec, exec, s[0:1]
	v_or_b32_e32 v1, 0x700, v0
	v_cmp_gt_u32_e32 vcc, s28, v1
	s_and_saveexec_b64 s[0:1], vcc
	s_cbranch_execz .LBB3_106
; %bb.105:
	v_add_co_u32_e32 v28, vcc, 0x1000, v26
	s_nop 1
	v_addc_co_u32_e32 v29, vcc, 0, v27, vcc
	s_waitcnt lgkmcnt(0)
	flat_store_dword v[28:29], v17 offset:3072
.LBB3_106:
	s_or_b64 exec, exec, s[0:1]
	v_or_b32_e32 v1, 0x800, v0
	v_cmp_gt_u32_e32 vcc, s28, v1
	s_and_saveexec_b64 s[0:1], vcc
	s_cbranch_execz .LBB3_108
; %bb.107:
	v_add_co_u32_e32 v28, vcc, 0x2000, v26
	s_nop 1
	v_addc_co_u32_e32 v29, vcc, 0, v27, vcc
	s_waitcnt lgkmcnt(0)
	flat_store_dword v[28:29], v14
.LBB3_108:
	s_or_b64 exec, exec, s[0:1]
	v_or_b32_e32 v1, 0x900, v0
	v_cmp_gt_u32_e32 vcc, s28, v1
	s_and_saveexec_b64 s[0:1], vcc
	s_cbranch_execz .LBB3_110
; %bb.109:
	v_add_co_u32_e32 v28, vcc, 0x2000, v26
	s_nop 1
	v_addc_co_u32_e32 v29, vcc, 0, v27, vcc
	s_waitcnt lgkmcnt(0)
	flat_store_dword v[28:29], v15 offset:1024
.LBB3_110:
	s_or_b64 exec, exec, s[0:1]
	v_or_b32_e32 v1, 0xa00, v0
	v_cmp_gt_u32_e32 vcc, s28, v1
	s_and_saveexec_b64 s[0:1], vcc
	s_cbranch_execz .LBB3_112
; %bb.111:
	v_add_co_u32_e32 v28, vcc, 0x2000, v26
	s_nop 1
	v_addc_co_u32_e32 v29, vcc, 0, v27, vcc
	s_waitcnt lgkmcnt(0)
	flat_store_dword v[28:29], v18 offset:2048
.LBB3_112:
	s_or_b64 exec, exec, s[0:1]
	v_or_b32_e32 v1, 0xb00, v0
	v_cmp_gt_u32_e32 vcc, s28, v1
	s_and_saveexec_b64 s[0:1], vcc
	s_cbranch_execz .LBB3_114
; %bb.113:
	v_add_co_u32_e32 v28, vcc, 0x2000, v26
	s_nop 1
	v_addc_co_u32_e32 v29, vcc, 0, v27, vcc
	s_waitcnt lgkmcnt(0)
	flat_store_dword v[28:29], v19 offset:3072
.LBB3_114:
	;; [unrolled: 48-line block ×5, first 2 shown]
	s_or_b64 exec, exec, s[0:1]
	v_cmp_lt_u64_e64 s[0:1], s[10:11], 2
	s_and_b64 vcc, exec, s[0:1]
	s_cbranch_vccnz .LBB3_146
; %bb.139:
	s_add_u32 s0, s28, -1
	s_addc_u32 s1, s29, -1
	s_add_u32 s2, 0, 0xaaaa0000
	s_addc_u32 s3, 0, 42
	s_add_i32 s3, s3, 0xaaaaa80
	s_mul_hi_u32 s9, s2, 0xffffffe8
	s_sub_i32 s9, s9, s2
	s_mul_i32 s10, s3, 0xffffffe8
	s_mul_i32 s4, s2, 0xffffffe8
	s_add_i32 s9, s9, s10
	s_mul_hi_u32 s5, s3, s4
	s_mul_i32 s8, s3, s4
	s_mul_i32 s11, s2, s9
	s_mul_hi_u32 s4, s2, s4
	s_mul_hi_u32 s10, s2, s9
	s_add_u32 s4, s4, s11
	s_addc_u32 s10, 0, s10
	s_add_u32 s4, s4, s8
	s_mul_hi_u32 s11, s3, s9
	s_addc_u32 s4, s10, s5
	s_addc_u32 s5, s11, 0
	s_mul_i32 s8, s3, s9
	s_add_u32 s4, s4, s8
	v_mov_b32_e32 v26, s4
	s_addc_u32 s5, 0, s5
	v_add_co_u32_e32 v26, vcc, s2, v26
	s_cmp_lg_u64 vcc, 0
	s_addc_u32 s2, s3, s5
	v_readfirstlane_b32 s5, v26
	s_mul_i32 s4, s0, s2
	s_mul_hi_u32 s8, s0, s5
	s_mul_hi_u32 s3, s0, s2
	s_add_u32 s4, s8, s4
	s_addc_u32 s3, 0, s3
	s_mul_hi_u32 s9, s1, s5
	s_mul_i32 s5, s1, s5
	s_add_u32 s4, s4, s5
	s_mul_hi_u32 s8, s1, s2
	s_addc_u32 s3, s3, s9
	s_addc_u32 s4, s8, 0
	s_mul_i32 s2, s1, s2
	s_add_u32 s2, s3, s2
	s_addc_u32 s3, 0, s4
	s_add_u32 s4, s2, 1
	s_addc_u32 s5, s3, 0
	s_add_u32 s8, s2, 2
	s_mul_i32 s10, s3, 24
	s_mul_hi_u32 s11, s2, 24
	s_addc_u32 s9, s3, 0
	s_add_i32 s11, s11, s10
	s_mul_i32 s10, s2, 24
	v_mov_b32_e32 v26, s10
	v_sub_co_u32_e32 v26, vcc, s0, v26
	s_cmp_lg_u64 vcc, 0
	s_subb_u32 s10, s1, s11
	v_subrev_co_u32_e32 v27, vcc, 24, v26
	s_cmp_lg_u64 vcc, 0
	s_subb_u32 s11, s10, 0
	v_readfirstlane_b32 s12, v27
	s_cmp_gt_u32 s12, 23
	s_cselect_b32 s12, -1, 0
	s_cmp_eq_u32 s11, 0
	s_cselect_b32 s11, s12, -1
	s_cmp_lg_u32 s11, 0
	s_cselect_b32 s4, s8, s4
	v_readfirstlane_b32 s8, v26
	s_cselect_b32 s5, s9, s5
	s_cmp_gt_u32 s8, 23
	s_cselect_b32 s8, -1, 0
	s_cmp_eq_u32 s10, 0
	s_cselect_b32 s8, s8, -1
	s_cmp_lg_u32 s8, 0
	v_mov_b32_e32 v1, v31
	s_cselect_b32 s3, s5, s3
	s_cselect_b32 s2, s4, s2
	v_cmp_eq_u64_e32 vcc, s[2:3], v[0:1]
	s_and_saveexec_b64 s[2:3], vcc
	s_cbranch_execz .LBB3_146
; %bb.140:
	v_mul_hi_u32_u24_e32 v1, 24, v0
	v_mov_b32_e32 v26, s1
	v_sub_co_u32_e32 v0, vcc, s0, v38
	s_mov_b64 s[0:1], 0
	s_nop 0
	v_subb_co_u32_e32 v1, vcc, v26, v1, vcc
	v_cmp_lt_i64_e32 vcc, 11, v[0:1]
	s_mov_b64 s[10:11], 0
	s_mov_b64 s[8:9], 0
	;; [unrolled: 1-line block ×3, first 2 shown]
	s_and_saveexec_b64 s[2:3], vcc
	s_xor_b64 s[2:3], exec, s[2:3]
	s_cbranch_execnz .LBB3_147
; %bb.141:
	s_andn2_saveexec_b64 s[2:3], s[2:3]
	s_cbranch_execnz .LBB3_192
.LBB3_142:
	s_or_b64 exec, exec, s[2:3]
	s_and_saveexec_b64 s[2:3], s[10:11]
	s_cbranch_execnz .LBB3_207
.LBB3_143:
	s_or_b64 exec, exec, s[2:3]
	s_and_saveexec_b64 s[2:3], s[8:9]
	s_cbranch_execnz .LBB3_208
.LBB3_144:
	s_or_b64 exec, exec, s[2:3]
	s_and_saveexec_b64 s[2:3], s[4:5]
	s_xor_b64 s[2:3], exec, s[2:3]
	s_cbranch_execnz .LBB3_209
.LBB3_145:
	s_or_b64 exec, exec, s[2:3]
	s_and_b64 exec, exec, s[0:1]
	s_cbranch_execnz .LBB3_210
.LBB3_146:
	s_endpgm
.LBB3_147:
	v_cmp_lt_i64_e32 vcc, 17, v[0:1]
	s_and_saveexec_b64 s[12:13], vcc
	s_xor_b64 s[12:13], exec, s[12:13]
	s_cbranch_execz .LBB3_169
; %bb.148:
	v_cmp_lt_i64_e32 vcc, 20, v[0:1]
                                        ; implicit-def: $vgpr9
	s_and_saveexec_b64 s[14:15], vcc
	s_xor_b64 s[14:15], exec, s[14:15]
	s_cbranch_execz .LBB3_158
; %bb.149:
	v_cmp_lt_i64_e32 vcc, 21, v[0:1]
	s_mov_b64 s[16:17], 0
                                        ; implicit-def: $vgpr9
	s_and_saveexec_b64 s[4:5], vcc
	s_xor_b64 s[4:5], exec, s[4:5]
	s_cbranch_execz .LBB3_155
; %bb.150:
	v_cmp_lt_i64_e32 vcc, 22, v[0:1]
	s_and_saveexec_b64 s[16:17], vcc
	s_xor_b64 s[16:17], exec, s[16:17]
	s_cbranch_execz .LBB3_152
; %bb.151:
	s_waitcnt lgkmcnt(0)
	v_mov_b32_e32 v8, 0
	global_store_dword v8, v25, s[6:7]
                                        ; implicit-def: $vgpr24
.LBB3_152:
	s_or_saveexec_b64 s[16:17], s[16:17]
	s_mov_b64 s[18:19], 0
	s_xor_b64 exec, exec, s[16:17]
; %bb.153:
	s_mov_b64 s[18:19], exec
; %bb.154:
	s_or_b64 exec, exec, s[16:17]
	s_and_b64 s[16:17], s[18:19], exec
	s_waitcnt lgkmcnt(0)
	v_mov_b32_e32 v9, v24
                                        ; implicit-def: $vgpr11
.LBB3_155:
	s_andn2_saveexec_b64 s[4:5], s[4:5]
; %bb.156:
	s_mov_b64 s[8:9], exec
                                        ; implicit-def: $vgpr9
; %bb.157:
	s_or_b64 exec, exec, s[4:5]
	s_and_b64 s[4:5], s[16:17], exec
	s_and_b64 s[8:9], s[8:9], exec
                                        ; implicit-def: $vgpr20_vgpr21
.LBB3_158:
	s_andn2_saveexec_b64 s[14:15], s[14:15]
	s_cbranch_execz .LBB3_168
; %bb.159:
	v_cmp_lt_i64_e32 vcc, 18, v[0:1]
	s_mov_b64 s[16:17], 0
	s_and_saveexec_b64 s[10:11], vcc
	s_xor_b64 s[10:11], exec, s[10:11]
	s_cbranch_execz .LBB3_165
; %bb.160:
	v_cmp_lt_i64_e32 vcc, 19, v[0:1]
	s_and_saveexec_b64 s[18:19], vcc
	s_xor_b64 s[18:19], exec, s[18:19]
; %bb.161:
	s_mov_b64 s[16:17], exec
                                        ; implicit-def: $vgpr20_vgpr21
; %bb.162:
	s_andn2_saveexec_b64 s[18:19], s[18:19]
	s_cbranch_execz .LBB3_164
; %bb.163:
	s_waitcnt lgkmcnt(0)
	v_mov_b32_e32 v8, 0
	global_store_dword v8, v21, s[6:7]
                                        ; implicit-def: $vgpr10
.LBB3_164:
	s_or_b64 exec, exec, s[18:19]
	s_and_b64 s[16:17], s[16:17], exec
                                        ; implicit-def: $vgpr20_vgpr21
.LBB3_165:
	s_andn2_saveexec_b64 s[10:11], s[10:11]
	s_cbranch_execz .LBB3_167
; %bb.166:
	s_waitcnt lgkmcnt(0)
	v_mov_b32_e32 v8, 0
	global_store_dword v8, v20, s[6:7]
                                        ; implicit-def: $vgpr10
.LBB3_167:
	s_or_b64 exec, exec, s[10:11]
	s_and_b64 s[10:11], s[16:17], exec
                                        ; implicit-def: $vgpr9
.LBB3_168:
	s_or_b64 exec, exec, s[14:15]
	s_and_b64 s[4:5], s[4:5], exec
	s_and_b64 s[8:9], s[8:9], exec
	;; [unrolled: 1-line block ×3, first 2 shown]
                                        ; implicit-def: $vgpr12
                                        ; implicit-def: $vgpr22_vgpr23
.LBB3_169:
	s_andn2_saveexec_b64 s[12:13], s[12:13]
	s_cbranch_execz .LBB3_191
; %bb.170:
	v_cmp_lt_i64_e32 vcc, 14, v[0:1]
	s_mov_b64 s[14:15], s[4:5]
	s_and_saveexec_b64 s[16:17], vcc
	s_xor_b64 s[16:17], exec, s[16:17]
	s_cbranch_execz .LBB3_180
; %bb.171:
	v_cmp_lt_i64_e32 vcc, 15, v[0:1]
	s_and_saveexec_b64 s[14:15], vcc
	s_xor_b64 s[14:15], exec, s[14:15]
	s_cbranch_execz .LBB3_177
; %bb.172:
	v_cmp_lt_i64_e32 vcc, 16, v[0:1]
	s_and_saveexec_b64 s[18:19], vcc
	s_xor_b64 s[18:19], exec, s[18:19]
	s_cbranch_execz .LBB3_174
; %bb.173:
	s_waitcnt lgkmcnt(0)
	v_mov_b32_e32 v8, 0
	global_store_dword v8, v23, s[6:7]
                                        ; implicit-def: $vgpr22_vgpr23
.LBB3_174:
	s_andn2_saveexec_b64 s[18:19], s[18:19]
	s_cbranch_execz .LBB3_176
; %bb.175:
	s_waitcnt lgkmcnt(0)
	v_mov_b32_e32 v8, 0
	global_store_dword v8, v22, s[6:7]
.LBB3_176:
	s_or_b64 exec, exec, s[18:19]
                                        ; implicit-def: $vgpr9
.LBB3_177:
	s_or_saveexec_b64 s[14:15], s[14:15]
	s_mov_b64 s[18:19], s[4:5]
	s_xor_b64 exec, exec, s[14:15]
; %bb.178:
	s_or_b64 s[18:19], s[4:5], exec
; %bb.179:
	s_or_b64 exec, exec, s[14:15]
	s_andn2_b64 s[14:15], s[4:5], exec
	s_and_b64 s[18:19], s[18:19], exec
	s_or_b64 s[14:15], s[14:15], s[18:19]
                                        ; implicit-def: $vgpr12
.LBB3_180:
	s_or_saveexec_b64 s[16:17], s[16:17]
	s_mov_b64 s[18:19], s[8:9]
                                        ; implicit-def: $vgpr11
	s_xor_b64 exec, exec, s[16:17]
	s_cbranch_execz .LBB3_190
; %bb.181:
	v_cmp_lt_i64_e32 vcc, 12, v[0:1]
	s_mov_b64 s[20:21], s[8:9]
	s_mov_b64 s[22:23], s[14:15]
                                        ; implicit-def: $vgpr11
	s_and_saveexec_b64 s[18:19], vcc
	s_xor_b64 s[18:19], exec, s[18:19]
	s_cbranch_execz .LBB3_187
; %bb.182:
	v_cmp_lt_i64_e32 vcc, 13, v[0:1]
	s_mov_b64 s[20:21], s[14:15]
	s_and_saveexec_b64 s[22:23], vcc
	s_xor_b64 s[22:23], exec, s[22:23]
; %bb.183:
	s_or_b64 s[20:21], s[14:15], exec
                                        ; implicit-def: $vgpr13
; %bb.184:
	s_or_saveexec_b64 s[22:23], s[22:23]
	s_mov_b64 s[24:25], s[8:9]
	s_xor_b64 exec, exec, s[22:23]
; %bb.185:
	s_or_b64 s[24:25], s[8:9], exec
                                        ; implicit-def: $vgpr8
; %bb.186:
	s_or_b64 exec, exec, s[22:23]
	s_andn2_b64 s[22:23], s[14:15], exec
	s_and_b64 s[20:21], s[20:21], exec
	s_or_b64 s[22:23], s[22:23], s[20:21]
	s_andn2_b64 s[20:21], s[8:9], exec
	s_and_b64 s[24:25], s[24:25], exec
	s_or_b64 s[20:21], s[20:21], s[24:25]
	s_waitcnt lgkmcnt(0)
	v_mov_b32_e32 v9, v8
	v_mov_b32_e32 v11, v13
                                        ; implicit-def: $vgpr12
.LBB3_187:
	s_andn2_saveexec_b64 s[18:19], s[18:19]
	s_cbranch_execz .LBB3_189
; %bb.188:
	s_or_b64 s[20:21], s[20:21], exec
                                        ; implicit-def: $vgpr9
	s_waitcnt lgkmcnt(0)
	v_mov_b32_e32 v11, v12
.LBB3_189:
	s_or_b64 exec, exec, s[18:19]
	s_andn2_b64 s[14:15], s[14:15], exec
	s_and_b64 s[18:19], s[22:23], exec
	s_or_b64 s[14:15], s[14:15], s[18:19]
	s_andn2_b64 s[18:19], s[8:9], exec
	s_and_b64 s[20:21], s[20:21], exec
	s_or_b64 s[18:19], s[18:19], s[20:21]
.LBB3_190:
	s_or_b64 exec, exec, s[16:17]
	s_andn2_b64 s[4:5], s[4:5], exec
	s_and_b64 s[14:15], s[14:15], exec
	s_or_b64 s[4:5], s[4:5], s[14:15]
	s_andn2_b64 s[8:9], s[8:9], exec
	s_and_b64 s[14:15], s[18:19], exec
	s_or_b64 s[8:9], s[8:9], s[14:15]
.LBB3_191:
	s_or_b64 exec, exec, s[12:13]
	s_and_b64 s[4:5], s[4:5], exec
	s_and_b64 s[8:9], s[8:9], exec
	;; [unrolled: 1-line block ×3, first 2 shown]
                                        ; implicit-def: $vgpr16
                                        ; implicit-def: $vgpr14
                                        ; implicit-def: $vgpr18
	s_andn2_saveexec_b64 s[2:3], s[2:3]
	s_cbranch_execz .LBB3_142
.LBB3_192:
	v_cmp_lt_i64_e32 vcc, 5, v[0:1]
	s_mov_b64 s[14:15], -1
	s_mov_b64 s[12:13], s[10:11]
	s_mov_b64 s[16:17], s[8:9]
	;; [unrolled: 1-line block ×3, first 2 shown]
                                        ; implicit-def: $vgpr9
                                        ; implicit-def: $vgpr11
	s_and_saveexec_b64 s[0:1], vcc
	s_cbranch_execz .LBB3_206
; %bb.193:
	v_cmp_lt_i64_e32 vcc, 8, v[0:1]
	s_mov_b64 s[12:13], s[10:11]
                                        ; implicit-def: $vgpr10
	s_and_saveexec_b64 s[14:15], vcc
	s_xor_b64 s[14:15], exec, s[14:15]
	s_cbranch_execz .LBB3_201
; %bb.194:
	v_cmp_lt_i64_e32 vcc, 9, v[0:1]
	s_and_saveexec_b64 s[12:13], vcc
	s_xor_b64 s[12:13], exec, s[12:13]
	s_cbranch_execz .LBB3_198
; %bb.195:
	v_cmp_lt_i64_e32 vcc, 10, v[0:1]
	s_and_saveexec_b64 s[16:17], vcc
	s_xor_b64 s[16:17], exec, s[16:17]
	s_andn2_saveexec_b64 s[16:17], s[16:17]
	s_cbranch_execz .LBB3_197
; %bb.196:
	s_waitcnt lgkmcnt(0)
	v_mov_b32_e32 v19, v18
.LBB3_197:
	s_or_b64 exec, exec, s[16:17]
                                        ; implicit-def: $vgpr15
.LBB3_198:
	s_andn2_saveexec_b64 s[12:13], s[12:13]
	s_cbranch_execz .LBB3_200
; %bb.199:
	s_waitcnt lgkmcnt(0)
	v_mov_b32_e32 v19, v15
.LBB3_200:
	s_or_b64 exec, exec, s[12:13]
	s_or_b64 s[12:13], s[10:11], exec
	s_waitcnt lgkmcnt(0)
	v_mov_b32_e32 v10, v19
                                        ; implicit-def: $vgpr16
                                        ; implicit-def: $vgpr14
.LBB3_201:
	s_or_saveexec_b64 s[14:15], s[14:15]
	s_mov_b64 s[16:17], s[8:9]
	s_mov_b64 s[20:21], s[4:5]
                                        ; implicit-def: $vgpr9
	s_xor_b64 exec, exec, s[14:15]
	s_cbranch_execz .LBB3_205
; %bb.202:
	v_cmp_lt_i64_e32 vcc, 6, v[0:1]
	s_mov_b64 s[20:21], -1
	s_mov_b64 s[18:19], s[12:13]
	s_mov_b64 s[16:17], s[8:9]
	s_and_saveexec_b64 s[22:23], vcc
; %bb.203:
	v_cmp_lt_i64_e32 vcc, 7, v[0:1]
	s_andn2_b64 s[18:19], s[12:13], exec
	s_and_b64 s[24:25], vcc, exec
	s_xor_b64 s[20:21], exec, -1
	s_or_b64 s[16:17], s[8:9], exec
	s_or_b64 s[18:19], s[18:19], s[24:25]
; %bb.204:
	s_or_b64 exec, exec, s[22:23]
	s_andn2_b64 s[22:23], s[4:5], exec
	s_and_b64 s[20:21], s[20:21], exec
	s_or_b64 s[20:21], s[22:23], s[20:21]
	s_andn2_b64 s[22:23], s[8:9], exec
	s_and_b64 s[16:17], s[16:17], exec
	s_andn2_b64 s[12:13], s[12:13], exec
	s_and_b64 s[18:19], s[18:19], exec
	s_or_b64 s[16:17], s[22:23], s[16:17]
	s_or_b64 s[12:13], s[12:13], s[18:19]
	s_waitcnt lgkmcnt(0)
	v_mov_b32_e32 v9, v16
	v_mov_b32_e32 v11, v17
	;; [unrolled: 1-line block ×3, first 2 shown]
.LBB3_205:
	s_or_b64 exec, exec, s[14:15]
	s_andn2_b64 s[18:19], s[4:5], exec
	s_and_b64 s[20:21], s[20:21], exec
	s_or_b64 s[18:19], s[18:19], s[20:21]
	s_andn2_b64 s[20:21], s[8:9], exec
	s_and_b64 s[16:17], s[16:17], exec
	s_or_b64 s[16:17], s[20:21], s[16:17]
	s_andn2_b64 s[20:21], s[10:11], exec
	s_and_b64 s[12:13], s[12:13], exec
	s_xor_b64 s[14:15], exec, -1
	s_or_b64 s[12:13], s[20:21], s[12:13]
.LBB3_206:
	s_or_b64 exec, exec, s[0:1]
	s_and_b64 s[0:1], s[14:15], exec
	s_andn2_b64 s[4:5], s[4:5], exec
	s_and_b64 s[14:15], s[18:19], exec
	s_or_b64 s[4:5], s[4:5], s[14:15]
	s_andn2_b64 s[8:9], s[8:9], exec
	s_and_b64 s[14:15], s[16:17], exec
	s_andn2_b64 s[10:11], s[10:11], exec
	s_and_b64 s[12:13], s[12:13], exec
	s_or_b64 s[8:9], s[8:9], s[14:15]
	s_or_b64 s[10:11], s[10:11], s[12:13]
	s_or_b64 exec, exec, s[2:3]
	s_and_saveexec_b64 s[2:3], s[10:11]
	s_cbranch_execz .LBB3_143
.LBB3_207:
	s_waitcnt lgkmcnt(0)
	v_mov_b32_e32 v8, 0
	s_andn2_b64 s[8:9], s[8:9], exec
	global_store_dword v8, v10, s[6:7]
                                        ; implicit-def: $vgpr9
                                        ; implicit-def: $vgpr11
	s_or_b64 exec, exec, s[2:3]
	s_and_saveexec_b64 s[2:3], s[8:9]
	s_cbranch_execz .LBB3_144
.LBB3_208:
	s_waitcnt lgkmcnt(0)
	v_mov_b32_e32 v8, 0
	global_store_dword v8, v11, s[6:7]
                                        ; implicit-def: $vgpr9
	s_or_b64 exec, exec, s[2:3]
	s_and_saveexec_b64 s[2:3], s[4:5]
	s_xor_b64 s[2:3], exec, s[2:3]
	s_cbranch_execz .LBB3_145
.LBB3_209:
	s_waitcnt lgkmcnt(0)
	v_mov_b32_e32 v8, 0
	global_store_dword v8, v9, s[6:7]
	s_or_b64 exec, exec, s[2:3]
	s_and_b64 exec, exec, s[0:1]
	s_cbranch_execz .LBB3_146
.LBB3_210:
	v_cmp_lt_i64_e32 vcc, 2, v[0:1]
	s_and_saveexec_b64 s[0:1], vcc
	s_xor_b64 s[0:1], exec, s[0:1]
	s_cbranch_execz .LBB3_220
; %bb.211:
	v_cmp_lt_i64_e32 vcc, 3, v[0:1]
	s_and_saveexec_b64 s[2:3], vcc
	s_xor_b64 s[2:3], exec, s[2:3]
	s_cbranch_execz .LBB3_217
; %bb.212:
	v_cmp_lt_i64_e32 vcc, 4, v[0:1]
	s_and_saveexec_b64 s[4:5], vcc
	s_xor_b64 s[4:5], exec, s[4:5]
	s_cbranch_execz .LBB3_214
; %bb.213:
	v_mov_b32_e32 v0, 0
	s_waitcnt lgkmcnt(0)
	global_store_dword v0, v7, s[6:7]
                                        ; implicit-def: $vgpr6_vgpr7
.LBB3_214:
	s_andn2_saveexec_b64 s[4:5], s[4:5]
	s_cbranch_execz .LBB3_216
; %bb.215:
	v_mov_b32_e32 v0, 0
	s_waitcnt lgkmcnt(0)
	global_store_dword v0, v6, s[6:7]
.LBB3_216:
	s_or_b64 exec, exec, s[4:5]
                                        ; implicit-def: $vgpr4_vgpr5
.LBB3_217:
	s_andn2_saveexec_b64 s[2:3], s[2:3]
	s_cbranch_execz .LBB3_219
; %bb.218:
	v_mov_b32_e32 v0, 0
	s_waitcnt lgkmcnt(0)
	global_store_dword v0, v5, s[6:7]
.LBB3_219:
	s_or_b64 exec, exec, s[2:3]
                                        ; implicit-def: $vgpr0_vgpr1
                                        ; implicit-def: $vgpr4_vgpr5
                                        ; implicit-def: $vgpr2_vgpr3
.LBB3_220:
	s_andn2_saveexec_b64 s[0:1], s[0:1]
	s_cbranch_execz .LBB3_146
; %bb.221:
	v_cmp_lt_i64_e32 vcc, 1, v[0:1]
	s_and_saveexec_b64 s[0:1], vcc
	s_xor_b64 s[0:1], exec, s[0:1]
	s_cbranch_execz .LBB3_223
; %bb.222:
	v_mov_b32_e32 v0, 0
	s_waitcnt lgkmcnt(0)
	global_store_dword v0, v4, s[6:7]
                                        ; implicit-def: $vgpr2_vgpr3
                                        ; implicit-def: $vgpr0_vgpr1
.LBB3_223:
	s_andn2_saveexec_b64 s[0:1], s[0:1]
	s_cbranch_execz .LBB3_146
; %bb.224:
	v_cmp_ne_u64_e32 vcc, 1, v[0:1]
	s_and_saveexec_b64 s[0:1], vcc
	s_xor_b64 s[0:1], exec, s[0:1]
	s_cbranch_execz .LBB3_226
; %bb.225:
	v_mov_b32_e32 v0, 0
	s_waitcnt lgkmcnt(0)
	global_store_dword v0, v2, s[6:7]
                                        ; implicit-def: $vgpr2_vgpr3
.LBB3_226:
	s_andn2_saveexec_b64 s[0:1], s[0:1]
	s_cbranch_execz .LBB3_146
; %bb.227:
	v_mov_b32_e32 v0, 0
	s_waitcnt lgkmcnt(0)
	global_store_dword v0, v3, s[6:7]
	s_endpgm
	.section	.rodata,"a",@progbits
	.p2align	6, 0x0
	.amdhsa_kernel _ZN7rocprim17ROCPRIM_400000_NS6detail17trampoline_kernelINS0_14default_configENS1_20scan_config_selectorIfEEZZNS1_9scan_implILNS1_25lookback_scan_determinismE0ELb1ELb1ES3_N6thrust23THRUST_200600_302600_NS6detail15normal_iteratorINS9_10device_ptrIKfEEEENSB_INSC_IfEEEEfNS9_4plusIvEEfEEDaPvRmT3_T4_T5_mT6_P12ihipStream_tbENKUlT_T0_E_clISt17integral_constantIbLb0EESX_EEDaSS_ST_EUlSS_E_NS1_11comp_targetILNS1_3genE5ELNS1_11target_archE942ELNS1_3gpuE9ELNS1_3repE0EEENS1_30default_config_static_selectorELNS0_4arch9wavefront6targetE1EEEvT1_
		.amdhsa_group_segment_fixed_size 24576
		.amdhsa_private_segment_fixed_size 0
		.amdhsa_kernarg_size 96
		.amdhsa_user_sgpr_count 2
		.amdhsa_user_sgpr_dispatch_ptr 0
		.amdhsa_user_sgpr_queue_ptr 0
		.amdhsa_user_sgpr_kernarg_segment_ptr 1
		.amdhsa_user_sgpr_dispatch_id 0
		.amdhsa_user_sgpr_kernarg_preload_length 0
		.amdhsa_user_sgpr_kernarg_preload_offset 0
		.amdhsa_user_sgpr_private_segment_size 0
		.amdhsa_uses_dynamic_stack 0
		.amdhsa_enable_private_segment 0
		.amdhsa_system_sgpr_workgroup_id_x 1
		.amdhsa_system_sgpr_workgroup_id_y 0
		.amdhsa_system_sgpr_workgroup_id_z 0
		.amdhsa_system_sgpr_workgroup_info 0
		.amdhsa_system_vgpr_workitem_id 0
		.amdhsa_next_free_vgpr 59
		.amdhsa_next_free_sgpr 32
		.amdhsa_accum_offset 60
		.amdhsa_reserve_vcc 1
		.amdhsa_float_round_mode_32 0
		.amdhsa_float_round_mode_16_64 0
		.amdhsa_float_denorm_mode_32 3
		.amdhsa_float_denorm_mode_16_64 3
		.amdhsa_dx10_clamp 1
		.amdhsa_ieee_mode 1
		.amdhsa_fp16_overflow 0
		.amdhsa_tg_split 0
		.amdhsa_exception_fp_ieee_invalid_op 0
		.amdhsa_exception_fp_denorm_src 0
		.amdhsa_exception_fp_ieee_div_zero 0
		.amdhsa_exception_fp_ieee_overflow 0
		.amdhsa_exception_fp_ieee_underflow 0
		.amdhsa_exception_fp_ieee_inexact 0
		.amdhsa_exception_int_div_zero 0
	.end_amdhsa_kernel
	.section	.text._ZN7rocprim17ROCPRIM_400000_NS6detail17trampoline_kernelINS0_14default_configENS1_20scan_config_selectorIfEEZZNS1_9scan_implILNS1_25lookback_scan_determinismE0ELb1ELb1ES3_N6thrust23THRUST_200600_302600_NS6detail15normal_iteratorINS9_10device_ptrIKfEEEENSB_INSC_IfEEEEfNS9_4plusIvEEfEEDaPvRmT3_T4_T5_mT6_P12ihipStream_tbENKUlT_T0_E_clISt17integral_constantIbLb0EESX_EEDaSS_ST_EUlSS_E_NS1_11comp_targetILNS1_3genE5ELNS1_11target_archE942ELNS1_3gpuE9ELNS1_3repE0EEENS1_30default_config_static_selectorELNS0_4arch9wavefront6targetE1EEEvT1_,"axG",@progbits,_ZN7rocprim17ROCPRIM_400000_NS6detail17trampoline_kernelINS0_14default_configENS1_20scan_config_selectorIfEEZZNS1_9scan_implILNS1_25lookback_scan_determinismE0ELb1ELb1ES3_N6thrust23THRUST_200600_302600_NS6detail15normal_iteratorINS9_10device_ptrIKfEEEENSB_INSC_IfEEEEfNS9_4plusIvEEfEEDaPvRmT3_T4_T5_mT6_P12ihipStream_tbENKUlT_T0_E_clISt17integral_constantIbLb0EESX_EEDaSS_ST_EUlSS_E_NS1_11comp_targetILNS1_3genE5ELNS1_11target_archE942ELNS1_3gpuE9ELNS1_3repE0EEENS1_30default_config_static_selectorELNS0_4arch9wavefront6targetE1EEEvT1_,comdat
.Lfunc_end3:
	.size	_ZN7rocprim17ROCPRIM_400000_NS6detail17trampoline_kernelINS0_14default_configENS1_20scan_config_selectorIfEEZZNS1_9scan_implILNS1_25lookback_scan_determinismE0ELb1ELb1ES3_N6thrust23THRUST_200600_302600_NS6detail15normal_iteratorINS9_10device_ptrIKfEEEENSB_INSC_IfEEEEfNS9_4plusIvEEfEEDaPvRmT3_T4_T5_mT6_P12ihipStream_tbENKUlT_T0_E_clISt17integral_constantIbLb0EESX_EEDaSS_ST_EUlSS_E_NS1_11comp_targetILNS1_3genE5ELNS1_11target_archE942ELNS1_3gpuE9ELNS1_3repE0EEENS1_30default_config_static_selectorELNS0_4arch9wavefront6targetE1EEEvT1_, .Lfunc_end3-_ZN7rocprim17ROCPRIM_400000_NS6detail17trampoline_kernelINS0_14default_configENS1_20scan_config_selectorIfEEZZNS1_9scan_implILNS1_25lookback_scan_determinismE0ELb1ELb1ES3_N6thrust23THRUST_200600_302600_NS6detail15normal_iteratorINS9_10device_ptrIKfEEEENSB_INSC_IfEEEEfNS9_4plusIvEEfEEDaPvRmT3_T4_T5_mT6_P12ihipStream_tbENKUlT_T0_E_clISt17integral_constantIbLb0EESX_EEDaSS_ST_EUlSS_E_NS1_11comp_targetILNS1_3genE5ELNS1_11target_archE942ELNS1_3gpuE9ELNS1_3repE0EEENS1_30default_config_static_selectorELNS0_4arch9wavefront6targetE1EEEvT1_
                                        ; -- End function
	.section	.AMDGPU.csdata,"",@progbits
; Kernel info:
; codeLenInByte = 8016
; NumSgprs: 38
; NumVgprs: 59
; NumAgprs: 0
; TotalNumVgprs: 59
; ScratchSize: 0
; MemoryBound: 0
; FloatMode: 240
; IeeeMode: 1
; LDSByteSize: 24576 bytes/workgroup (compile time only)
; SGPRBlocks: 4
; VGPRBlocks: 7
; NumSGPRsForWavesPerEU: 38
; NumVGPRsForWavesPerEU: 59
; AccumOffset: 60
; Occupancy: 2
; WaveLimiterHint : 1
; COMPUTE_PGM_RSRC2:SCRATCH_EN: 0
; COMPUTE_PGM_RSRC2:USER_SGPR: 2
; COMPUTE_PGM_RSRC2:TRAP_HANDLER: 0
; COMPUTE_PGM_RSRC2:TGID_X_EN: 1
; COMPUTE_PGM_RSRC2:TGID_Y_EN: 0
; COMPUTE_PGM_RSRC2:TGID_Z_EN: 0
; COMPUTE_PGM_RSRC2:TIDIG_COMP_CNT: 0
; COMPUTE_PGM_RSRC3_GFX90A:ACCUM_OFFSET: 14
; COMPUTE_PGM_RSRC3_GFX90A:TG_SPLIT: 0
	.section	.text._ZN7rocprim17ROCPRIM_400000_NS6detail17trampoline_kernelINS0_14default_configENS1_20scan_config_selectorIfEEZZNS1_9scan_implILNS1_25lookback_scan_determinismE0ELb1ELb1ES3_N6thrust23THRUST_200600_302600_NS6detail15normal_iteratorINS9_10device_ptrIKfEEEENSB_INSC_IfEEEEfNS9_4plusIvEEfEEDaPvRmT3_T4_T5_mT6_P12ihipStream_tbENKUlT_T0_E_clISt17integral_constantIbLb0EESX_EEDaSS_ST_EUlSS_E_NS1_11comp_targetILNS1_3genE4ELNS1_11target_archE910ELNS1_3gpuE8ELNS1_3repE0EEENS1_30default_config_static_selectorELNS0_4arch9wavefront6targetE1EEEvT1_,"axG",@progbits,_ZN7rocprim17ROCPRIM_400000_NS6detail17trampoline_kernelINS0_14default_configENS1_20scan_config_selectorIfEEZZNS1_9scan_implILNS1_25lookback_scan_determinismE0ELb1ELb1ES3_N6thrust23THRUST_200600_302600_NS6detail15normal_iteratorINS9_10device_ptrIKfEEEENSB_INSC_IfEEEEfNS9_4plusIvEEfEEDaPvRmT3_T4_T5_mT6_P12ihipStream_tbENKUlT_T0_E_clISt17integral_constantIbLb0EESX_EEDaSS_ST_EUlSS_E_NS1_11comp_targetILNS1_3genE4ELNS1_11target_archE910ELNS1_3gpuE8ELNS1_3repE0EEENS1_30default_config_static_selectorELNS0_4arch9wavefront6targetE1EEEvT1_,comdat
	.protected	_ZN7rocprim17ROCPRIM_400000_NS6detail17trampoline_kernelINS0_14default_configENS1_20scan_config_selectorIfEEZZNS1_9scan_implILNS1_25lookback_scan_determinismE0ELb1ELb1ES3_N6thrust23THRUST_200600_302600_NS6detail15normal_iteratorINS9_10device_ptrIKfEEEENSB_INSC_IfEEEEfNS9_4plusIvEEfEEDaPvRmT3_T4_T5_mT6_P12ihipStream_tbENKUlT_T0_E_clISt17integral_constantIbLb0EESX_EEDaSS_ST_EUlSS_E_NS1_11comp_targetILNS1_3genE4ELNS1_11target_archE910ELNS1_3gpuE8ELNS1_3repE0EEENS1_30default_config_static_selectorELNS0_4arch9wavefront6targetE1EEEvT1_ ; -- Begin function _ZN7rocprim17ROCPRIM_400000_NS6detail17trampoline_kernelINS0_14default_configENS1_20scan_config_selectorIfEEZZNS1_9scan_implILNS1_25lookback_scan_determinismE0ELb1ELb1ES3_N6thrust23THRUST_200600_302600_NS6detail15normal_iteratorINS9_10device_ptrIKfEEEENSB_INSC_IfEEEEfNS9_4plusIvEEfEEDaPvRmT3_T4_T5_mT6_P12ihipStream_tbENKUlT_T0_E_clISt17integral_constantIbLb0EESX_EEDaSS_ST_EUlSS_E_NS1_11comp_targetILNS1_3genE4ELNS1_11target_archE910ELNS1_3gpuE8ELNS1_3repE0EEENS1_30default_config_static_selectorELNS0_4arch9wavefront6targetE1EEEvT1_
	.globl	_ZN7rocprim17ROCPRIM_400000_NS6detail17trampoline_kernelINS0_14default_configENS1_20scan_config_selectorIfEEZZNS1_9scan_implILNS1_25lookback_scan_determinismE0ELb1ELb1ES3_N6thrust23THRUST_200600_302600_NS6detail15normal_iteratorINS9_10device_ptrIKfEEEENSB_INSC_IfEEEEfNS9_4plusIvEEfEEDaPvRmT3_T4_T5_mT6_P12ihipStream_tbENKUlT_T0_E_clISt17integral_constantIbLb0EESX_EEDaSS_ST_EUlSS_E_NS1_11comp_targetILNS1_3genE4ELNS1_11target_archE910ELNS1_3gpuE8ELNS1_3repE0EEENS1_30default_config_static_selectorELNS0_4arch9wavefront6targetE1EEEvT1_
	.p2align	8
	.type	_ZN7rocprim17ROCPRIM_400000_NS6detail17trampoline_kernelINS0_14default_configENS1_20scan_config_selectorIfEEZZNS1_9scan_implILNS1_25lookback_scan_determinismE0ELb1ELb1ES3_N6thrust23THRUST_200600_302600_NS6detail15normal_iteratorINS9_10device_ptrIKfEEEENSB_INSC_IfEEEEfNS9_4plusIvEEfEEDaPvRmT3_T4_T5_mT6_P12ihipStream_tbENKUlT_T0_E_clISt17integral_constantIbLb0EESX_EEDaSS_ST_EUlSS_E_NS1_11comp_targetILNS1_3genE4ELNS1_11target_archE910ELNS1_3gpuE8ELNS1_3repE0EEENS1_30default_config_static_selectorELNS0_4arch9wavefront6targetE1EEEvT1_,@function
_ZN7rocprim17ROCPRIM_400000_NS6detail17trampoline_kernelINS0_14default_configENS1_20scan_config_selectorIfEEZZNS1_9scan_implILNS1_25lookback_scan_determinismE0ELb1ELb1ES3_N6thrust23THRUST_200600_302600_NS6detail15normal_iteratorINS9_10device_ptrIKfEEEENSB_INSC_IfEEEEfNS9_4plusIvEEfEEDaPvRmT3_T4_T5_mT6_P12ihipStream_tbENKUlT_T0_E_clISt17integral_constantIbLb0EESX_EEDaSS_ST_EUlSS_E_NS1_11comp_targetILNS1_3genE4ELNS1_11target_archE910ELNS1_3gpuE8ELNS1_3repE0EEENS1_30default_config_static_selectorELNS0_4arch9wavefront6targetE1EEEvT1_: ; @_ZN7rocprim17ROCPRIM_400000_NS6detail17trampoline_kernelINS0_14default_configENS1_20scan_config_selectorIfEEZZNS1_9scan_implILNS1_25lookback_scan_determinismE0ELb1ELb1ES3_N6thrust23THRUST_200600_302600_NS6detail15normal_iteratorINS9_10device_ptrIKfEEEENSB_INSC_IfEEEEfNS9_4plusIvEEfEEDaPvRmT3_T4_T5_mT6_P12ihipStream_tbENKUlT_T0_E_clISt17integral_constantIbLb0EESX_EEDaSS_ST_EUlSS_E_NS1_11comp_targetILNS1_3genE4ELNS1_11target_archE910ELNS1_3gpuE8ELNS1_3repE0EEENS1_30default_config_static_selectorELNS0_4arch9wavefront6targetE1EEEvT1_
; %bb.0:
	.section	.rodata,"a",@progbits
	.p2align	6, 0x0
	.amdhsa_kernel _ZN7rocprim17ROCPRIM_400000_NS6detail17trampoline_kernelINS0_14default_configENS1_20scan_config_selectorIfEEZZNS1_9scan_implILNS1_25lookback_scan_determinismE0ELb1ELb1ES3_N6thrust23THRUST_200600_302600_NS6detail15normal_iteratorINS9_10device_ptrIKfEEEENSB_INSC_IfEEEEfNS9_4plusIvEEfEEDaPvRmT3_T4_T5_mT6_P12ihipStream_tbENKUlT_T0_E_clISt17integral_constantIbLb0EESX_EEDaSS_ST_EUlSS_E_NS1_11comp_targetILNS1_3genE4ELNS1_11target_archE910ELNS1_3gpuE8ELNS1_3repE0EEENS1_30default_config_static_selectorELNS0_4arch9wavefront6targetE1EEEvT1_
		.amdhsa_group_segment_fixed_size 0
		.amdhsa_private_segment_fixed_size 0
		.amdhsa_kernarg_size 96
		.amdhsa_user_sgpr_count 2
		.amdhsa_user_sgpr_dispatch_ptr 0
		.amdhsa_user_sgpr_queue_ptr 0
		.amdhsa_user_sgpr_kernarg_segment_ptr 1
		.amdhsa_user_sgpr_dispatch_id 0
		.amdhsa_user_sgpr_kernarg_preload_length 0
		.amdhsa_user_sgpr_kernarg_preload_offset 0
		.amdhsa_user_sgpr_private_segment_size 0
		.amdhsa_uses_dynamic_stack 0
		.amdhsa_enable_private_segment 0
		.amdhsa_system_sgpr_workgroup_id_x 1
		.amdhsa_system_sgpr_workgroup_id_y 0
		.amdhsa_system_sgpr_workgroup_id_z 0
		.amdhsa_system_sgpr_workgroup_info 0
		.amdhsa_system_vgpr_workitem_id 0
		.amdhsa_next_free_vgpr 1
		.amdhsa_next_free_sgpr 0
		.amdhsa_accum_offset 4
		.amdhsa_reserve_vcc 0
		.amdhsa_float_round_mode_32 0
		.amdhsa_float_round_mode_16_64 0
		.amdhsa_float_denorm_mode_32 3
		.amdhsa_float_denorm_mode_16_64 3
		.amdhsa_dx10_clamp 1
		.amdhsa_ieee_mode 1
		.amdhsa_fp16_overflow 0
		.amdhsa_tg_split 0
		.amdhsa_exception_fp_ieee_invalid_op 0
		.amdhsa_exception_fp_denorm_src 0
		.amdhsa_exception_fp_ieee_div_zero 0
		.amdhsa_exception_fp_ieee_overflow 0
		.amdhsa_exception_fp_ieee_underflow 0
		.amdhsa_exception_fp_ieee_inexact 0
		.amdhsa_exception_int_div_zero 0
	.end_amdhsa_kernel
	.section	.text._ZN7rocprim17ROCPRIM_400000_NS6detail17trampoline_kernelINS0_14default_configENS1_20scan_config_selectorIfEEZZNS1_9scan_implILNS1_25lookback_scan_determinismE0ELb1ELb1ES3_N6thrust23THRUST_200600_302600_NS6detail15normal_iteratorINS9_10device_ptrIKfEEEENSB_INSC_IfEEEEfNS9_4plusIvEEfEEDaPvRmT3_T4_T5_mT6_P12ihipStream_tbENKUlT_T0_E_clISt17integral_constantIbLb0EESX_EEDaSS_ST_EUlSS_E_NS1_11comp_targetILNS1_3genE4ELNS1_11target_archE910ELNS1_3gpuE8ELNS1_3repE0EEENS1_30default_config_static_selectorELNS0_4arch9wavefront6targetE1EEEvT1_,"axG",@progbits,_ZN7rocprim17ROCPRIM_400000_NS6detail17trampoline_kernelINS0_14default_configENS1_20scan_config_selectorIfEEZZNS1_9scan_implILNS1_25lookback_scan_determinismE0ELb1ELb1ES3_N6thrust23THRUST_200600_302600_NS6detail15normal_iteratorINS9_10device_ptrIKfEEEENSB_INSC_IfEEEEfNS9_4plusIvEEfEEDaPvRmT3_T4_T5_mT6_P12ihipStream_tbENKUlT_T0_E_clISt17integral_constantIbLb0EESX_EEDaSS_ST_EUlSS_E_NS1_11comp_targetILNS1_3genE4ELNS1_11target_archE910ELNS1_3gpuE8ELNS1_3repE0EEENS1_30default_config_static_selectorELNS0_4arch9wavefront6targetE1EEEvT1_,comdat
.Lfunc_end4:
	.size	_ZN7rocprim17ROCPRIM_400000_NS6detail17trampoline_kernelINS0_14default_configENS1_20scan_config_selectorIfEEZZNS1_9scan_implILNS1_25lookback_scan_determinismE0ELb1ELb1ES3_N6thrust23THRUST_200600_302600_NS6detail15normal_iteratorINS9_10device_ptrIKfEEEENSB_INSC_IfEEEEfNS9_4plusIvEEfEEDaPvRmT3_T4_T5_mT6_P12ihipStream_tbENKUlT_T0_E_clISt17integral_constantIbLb0EESX_EEDaSS_ST_EUlSS_E_NS1_11comp_targetILNS1_3genE4ELNS1_11target_archE910ELNS1_3gpuE8ELNS1_3repE0EEENS1_30default_config_static_selectorELNS0_4arch9wavefront6targetE1EEEvT1_, .Lfunc_end4-_ZN7rocprim17ROCPRIM_400000_NS6detail17trampoline_kernelINS0_14default_configENS1_20scan_config_selectorIfEEZZNS1_9scan_implILNS1_25lookback_scan_determinismE0ELb1ELb1ES3_N6thrust23THRUST_200600_302600_NS6detail15normal_iteratorINS9_10device_ptrIKfEEEENSB_INSC_IfEEEEfNS9_4plusIvEEfEEDaPvRmT3_T4_T5_mT6_P12ihipStream_tbENKUlT_T0_E_clISt17integral_constantIbLb0EESX_EEDaSS_ST_EUlSS_E_NS1_11comp_targetILNS1_3genE4ELNS1_11target_archE910ELNS1_3gpuE8ELNS1_3repE0EEENS1_30default_config_static_selectorELNS0_4arch9wavefront6targetE1EEEvT1_
                                        ; -- End function
	.section	.AMDGPU.csdata,"",@progbits
; Kernel info:
; codeLenInByte = 0
; NumSgprs: 6
; NumVgprs: 0
; NumAgprs: 0
; TotalNumVgprs: 0
; ScratchSize: 0
; MemoryBound: 0
; FloatMode: 240
; IeeeMode: 1
; LDSByteSize: 0 bytes/workgroup (compile time only)
; SGPRBlocks: 0
; VGPRBlocks: 0
; NumSGPRsForWavesPerEU: 6
; NumVGPRsForWavesPerEU: 1
; AccumOffset: 4
; Occupancy: 8
; WaveLimiterHint : 0
; COMPUTE_PGM_RSRC2:SCRATCH_EN: 0
; COMPUTE_PGM_RSRC2:USER_SGPR: 2
; COMPUTE_PGM_RSRC2:TRAP_HANDLER: 0
; COMPUTE_PGM_RSRC2:TGID_X_EN: 1
; COMPUTE_PGM_RSRC2:TGID_Y_EN: 0
; COMPUTE_PGM_RSRC2:TGID_Z_EN: 0
; COMPUTE_PGM_RSRC2:TIDIG_COMP_CNT: 0
; COMPUTE_PGM_RSRC3_GFX90A:ACCUM_OFFSET: 0
; COMPUTE_PGM_RSRC3_GFX90A:TG_SPLIT: 0
	.section	.text._ZN7rocprim17ROCPRIM_400000_NS6detail17trampoline_kernelINS0_14default_configENS1_20scan_config_selectorIfEEZZNS1_9scan_implILNS1_25lookback_scan_determinismE0ELb1ELb1ES3_N6thrust23THRUST_200600_302600_NS6detail15normal_iteratorINS9_10device_ptrIKfEEEENSB_INSC_IfEEEEfNS9_4plusIvEEfEEDaPvRmT3_T4_T5_mT6_P12ihipStream_tbENKUlT_T0_E_clISt17integral_constantIbLb0EESX_EEDaSS_ST_EUlSS_E_NS1_11comp_targetILNS1_3genE3ELNS1_11target_archE908ELNS1_3gpuE7ELNS1_3repE0EEENS1_30default_config_static_selectorELNS0_4arch9wavefront6targetE1EEEvT1_,"axG",@progbits,_ZN7rocprim17ROCPRIM_400000_NS6detail17trampoline_kernelINS0_14default_configENS1_20scan_config_selectorIfEEZZNS1_9scan_implILNS1_25lookback_scan_determinismE0ELb1ELb1ES3_N6thrust23THRUST_200600_302600_NS6detail15normal_iteratorINS9_10device_ptrIKfEEEENSB_INSC_IfEEEEfNS9_4plusIvEEfEEDaPvRmT3_T4_T5_mT6_P12ihipStream_tbENKUlT_T0_E_clISt17integral_constantIbLb0EESX_EEDaSS_ST_EUlSS_E_NS1_11comp_targetILNS1_3genE3ELNS1_11target_archE908ELNS1_3gpuE7ELNS1_3repE0EEENS1_30default_config_static_selectorELNS0_4arch9wavefront6targetE1EEEvT1_,comdat
	.protected	_ZN7rocprim17ROCPRIM_400000_NS6detail17trampoline_kernelINS0_14default_configENS1_20scan_config_selectorIfEEZZNS1_9scan_implILNS1_25lookback_scan_determinismE0ELb1ELb1ES3_N6thrust23THRUST_200600_302600_NS6detail15normal_iteratorINS9_10device_ptrIKfEEEENSB_INSC_IfEEEEfNS9_4plusIvEEfEEDaPvRmT3_T4_T5_mT6_P12ihipStream_tbENKUlT_T0_E_clISt17integral_constantIbLb0EESX_EEDaSS_ST_EUlSS_E_NS1_11comp_targetILNS1_3genE3ELNS1_11target_archE908ELNS1_3gpuE7ELNS1_3repE0EEENS1_30default_config_static_selectorELNS0_4arch9wavefront6targetE1EEEvT1_ ; -- Begin function _ZN7rocprim17ROCPRIM_400000_NS6detail17trampoline_kernelINS0_14default_configENS1_20scan_config_selectorIfEEZZNS1_9scan_implILNS1_25lookback_scan_determinismE0ELb1ELb1ES3_N6thrust23THRUST_200600_302600_NS6detail15normal_iteratorINS9_10device_ptrIKfEEEENSB_INSC_IfEEEEfNS9_4plusIvEEfEEDaPvRmT3_T4_T5_mT6_P12ihipStream_tbENKUlT_T0_E_clISt17integral_constantIbLb0EESX_EEDaSS_ST_EUlSS_E_NS1_11comp_targetILNS1_3genE3ELNS1_11target_archE908ELNS1_3gpuE7ELNS1_3repE0EEENS1_30default_config_static_selectorELNS0_4arch9wavefront6targetE1EEEvT1_
	.globl	_ZN7rocprim17ROCPRIM_400000_NS6detail17trampoline_kernelINS0_14default_configENS1_20scan_config_selectorIfEEZZNS1_9scan_implILNS1_25lookback_scan_determinismE0ELb1ELb1ES3_N6thrust23THRUST_200600_302600_NS6detail15normal_iteratorINS9_10device_ptrIKfEEEENSB_INSC_IfEEEEfNS9_4plusIvEEfEEDaPvRmT3_T4_T5_mT6_P12ihipStream_tbENKUlT_T0_E_clISt17integral_constantIbLb0EESX_EEDaSS_ST_EUlSS_E_NS1_11comp_targetILNS1_3genE3ELNS1_11target_archE908ELNS1_3gpuE7ELNS1_3repE0EEENS1_30default_config_static_selectorELNS0_4arch9wavefront6targetE1EEEvT1_
	.p2align	8
	.type	_ZN7rocprim17ROCPRIM_400000_NS6detail17trampoline_kernelINS0_14default_configENS1_20scan_config_selectorIfEEZZNS1_9scan_implILNS1_25lookback_scan_determinismE0ELb1ELb1ES3_N6thrust23THRUST_200600_302600_NS6detail15normal_iteratorINS9_10device_ptrIKfEEEENSB_INSC_IfEEEEfNS9_4plusIvEEfEEDaPvRmT3_T4_T5_mT6_P12ihipStream_tbENKUlT_T0_E_clISt17integral_constantIbLb0EESX_EEDaSS_ST_EUlSS_E_NS1_11comp_targetILNS1_3genE3ELNS1_11target_archE908ELNS1_3gpuE7ELNS1_3repE0EEENS1_30default_config_static_selectorELNS0_4arch9wavefront6targetE1EEEvT1_,@function
_ZN7rocprim17ROCPRIM_400000_NS6detail17trampoline_kernelINS0_14default_configENS1_20scan_config_selectorIfEEZZNS1_9scan_implILNS1_25lookback_scan_determinismE0ELb1ELb1ES3_N6thrust23THRUST_200600_302600_NS6detail15normal_iteratorINS9_10device_ptrIKfEEEENSB_INSC_IfEEEEfNS9_4plusIvEEfEEDaPvRmT3_T4_T5_mT6_P12ihipStream_tbENKUlT_T0_E_clISt17integral_constantIbLb0EESX_EEDaSS_ST_EUlSS_E_NS1_11comp_targetILNS1_3genE3ELNS1_11target_archE908ELNS1_3gpuE7ELNS1_3repE0EEENS1_30default_config_static_selectorELNS0_4arch9wavefront6targetE1EEEvT1_: ; @_ZN7rocprim17ROCPRIM_400000_NS6detail17trampoline_kernelINS0_14default_configENS1_20scan_config_selectorIfEEZZNS1_9scan_implILNS1_25lookback_scan_determinismE0ELb1ELb1ES3_N6thrust23THRUST_200600_302600_NS6detail15normal_iteratorINS9_10device_ptrIKfEEEENSB_INSC_IfEEEEfNS9_4plusIvEEfEEDaPvRmT3_T4_T5_mT6_P12ihipStream_tbENKUlT_T0_E_clISt17integral_constantIbLb0EESX_EEDaSS_ST_EUlSS_E_NS1_11comp_targetILNS1_3genE3ELNS1_11target_archE908ELNS1_3gpuE7ELNS1_3repE0EEENS1_30default_config_static_selectorELNS0_4arch9wavefront6targetE1EEEvT1_
; %bb.0:
	.section	.rodata,"a",@progbits
	.p2align	6, 0x0
	.amdhsa_kernel _ZN7rocprim17ROCPRIM_400000_NS6detail17trampoline_kernelINS0_14default_configENS1_20scan_config_selectorIfEEZZNS1_9scan_implILNS1_25lookback_scan_determinismE0ELb1ELb1ES3_N6thrust23THRUST_200600_302600_NS6detail15normal_iteratorINS9_10device_ptrIKfEEEENSB_INSC_IfEEEEfNS9_4plusIvEEfEEDaPvRmT3_T4_T5_mT6_P12ihipStream_tbENKUlT_T0_E_clISt17integral_constantIbLb0EESX_EEDaSS_ST_EUlSS_E_NS1_11comp_targetILNS1_3genE3ELNS1_11target_archE908ELNS1_3gpuE7ELNS1_3repE0EEENS1_30default_config_static_selectorELNS0_4arch9wavefront6targetE1EEEvT1_
		.amdhsa_group_segment_fixed_size 0
		.amdhsa_private_segment_fixed_size 0
		.amdhsa_kernarg_size 96
		.amdhsa_user_sgpr_count 2
		.amdhsa_user_sgpr_dispatch_ptr 0
		.amdhsa_user_sgpr_queue_ptr 0
		.amdhsa_user_sgpr_kernarg_segment_ptr 1
		.amdhsa_user_sgpr_dispatch_id 0
		.amdhsa_user_sgpr_kernarg_preload_length 0
		.amdhsa_user_sgpr_kernarg_preload_offset 0
		.amdhsa_user_sgpr_private_segment_size 0
		.amdhsa_uses_dynamic_stack 0
		.amdhsa_enable_private_segment 0
		.amdhsa_system_sgpr_workgroup_id_x 1
		.amdhsa_system_sgpr_workgroup_id_y 0
		.amdhsa_system_sgpr_workgroup_id_z 0
		.amdhsa_system_sgpr_workgroup_info 0
		.amdhsa_system_vgpr_workitem_id 0
		.amdhsa_next_free_vgpr 1
		.amdhsa_next_free_sgpr 0
		.amdhsa_accum_offset 4
		.amdhsa_reserve_vcc 0
		.amdhsa_float_round_mode_32 0
		.amdhsa_float_round_mode_16_64 0
		.amdhsa_float_denorm_mode_32 3
		.amdhsa_float_denorm_mode_16_64 3
		.amdhsa_dx10_clamp 1
		.amdhsa_ieee_mode 1
		.amdhsa_fp16_overflow 0
		.amdhsa_tg_split 0
		.amdhsa_exception_fp_ieee_invalid_op 0
		.amdhsa_exception_fp_denorm_src 0
		.amdhsa_exception_fp_ieee_div_zero 0
		.amdhsa_exception_fp_ieee_overflow 0
		.amdhsa_exception_fp_ieee_underflow 0
		.amdhsa_exception_fp_ieee_inexact 0
		.amdhsa_exception_int_div_zero 0
	.end_amdhsa_kernel
	.section	.text._ZN7rocprim17ROCPRIM_400000_NS6detail17trampoline_kernelINS0_14default_configENS1_20scan_config_selectorIfEEZZNS1_9scan_implILNS1_25lookback_scan_determinismE0ELb1ELb1ES3_N6thrust23THRUST_200600_302600_NS6detail15normal_iteratorINS9_10device_ptrIKfEEEENSB_INSC_IfEEEEfNS9_4plusIvEEfEEDaPvRmT3_T4_T5_mT6_P12ihipStream_tbENKUlT_T0_E_clISt17integral_constantIbLb0EESX_EEDaSS_ST_EUlSS_E_NS1_11comp_targetILNS1_3genE3ELNS1_11target_archE908ELNS1_3gpuE7ELNS1_3repE0EEENS1_30default_config_static_selectorELNS0_4arch9wavefront6targetE1EEEvT1_,"axG",@progbits,_ZN7rocprim17ROCPRIM_400000_NS6detail17trampoline_kernelINS0_14default_configENS1_20scan_config_selectorIfEEZZNS1_9scan_implILNS1_25lookback_scan_determinismE0ELb1ELb1ES3_N6thrust23THRUST_200600_302600_NS6detail15normal_iteratorINS9_10device_ptrIKfEEEENSB_INSC_IfEEEEfNS9_4plusIvEEfEEDaPvRmT3_T4_T5_mT6_P12ihipStream_tbENKUlT_T0_E_clISt17integral_constantIbLb0EESX_EEDaSS_ST_EUlSS_E_NS1_11comp_targetILNS1_3genE3ELNS1_11target_archE908ELNS1_3gpuE7ELNS1_3repE0EEENS1_30default_config_static_selectorELNS0_4arch9wavefront6targetE1EEEvT1_,comdat
.Lfunc_end5:
	.size	_ZN7rocprim17ROCPRIM_400000_NS6detail17trampoline_kernelINS0_14default_configENS1_20scan_config_selectorIfEEZZNS1_9scan_implILNS1_25lookback_scan_determinismE0ELb1ELb1ES3_N6thrust23THRUST_200600_302600_NS6detail15normal_iteratorINS9_10device_ptrIKfEEEENSB_INSC_IfEEEEfNS9_4plusIvEEfEEDaPvRmT3_T4_T5_mT6_P12ihipStream_tbENKUlT_T0_E_clISt17integral_constantIbLb0EESX_EEDaSS_ST_EUlSS_E_NS1_11comp_targetILNS1_3genE3ELNS1_11target_archE908ELNS1_3gpuE7ELNS1_3repE0EEENS1_30default_config_static_selectorELNS0_4arch9wavefront6targetE1EEEvT1_, .Lfunc_end5-_ZN7rocprim17ROCPRIM_400000_NS6detail17trampoline_kernelINS0_14default_configENS1_20scan_config_selectorIfEEZZNS1_9scan_implILNS1_25lookback_scan_determinismE0ELb1ELb1ES3_N6thrust23THRUST_200600_302600_NS6detail15normal_iteratorINS9_10device_ptrIKfEEEENSB_INSC_IfEEEEfNS9_4plusIvEEfEEDaPvRmT3_T4_T5_mT6_P12ihipStream_tbENKUlT_T0_E_clISt17integral_constantIbLb0EESX_EEDaSS_ST_EUlSS_E_NS1_11comp_targetILNS1_3genE3ELNS1_11target_archE908ELNS1_3gpuE7ELNS1_3repE0EEENS1_30default_config_static_selectorELNS0_4arch9wavefront6targetE1EEEvT1_
                                        ; -- End function
	.section	.AMDGPU.csdata,"",@progbits
; Kernel info:
; codeLenInByte = 0
; NumSgprs: 6
; NumVgprs: 0
; NumAgprs: 0
; TotalNumVgprs: 0
; ScratchSize: 0
; MemoryBound: 0
; FloatMode: 240
; IeeeMode: 1
; LDSByteSize: 0 bytes/workgroup (compile time only)
; SGPRBlocks: 0
; VGPRBlocks: 0
; NumSGPRsForWavesPerEU: 6
; NumVGPRsForWavesPerEU: 1
; AccumOffset: 4
; Occupancy: 8
; WaveLimiterHint : 0
; COMPUTE_PGM_RSRC2:SCRATCH_EN: 0
; COMPUTE_PGM_RSRC2:USER_SGPR: 2
; COMPUTE_PGM_RSRC2:TRAP_HANDLER: 0
; COMPUTE_PGM_RSRC2:TGID_X_EN: 1
; COMPUTE_PGM_RSRC2:TGID_Y_EN: 0
; COMPUTE_PGM_RSRC2:TGID_Z_EN: 0
; COMPUTE_PGM_RSRC2:TIDIG_COMP_CNT: 0
; COMPUTE_PGM_RSRC3_GFX90A:ACCUM_OFFSET: 0
; COMPUTE_PGM_RSRC3_GFX90A:TG_SPLIT: 0
	.section	.text._ZN7rocprim17ROCPRIM_400000_NS6detail17trampoline_kernelINS0_14default_configENS1_20scan_config_selectorIfEEZZNS1_9scan_implILNS1_25lookback_scan_determinismE0ELb1ELb1ES3_N6thrust23THRUST_200600_302600_NS6detail15normal_iteratorINS9_10device_ptrIKfEEEENSB_INSC_IfEEEEfNS9_4plusIvEEfEEDaPvRmT3_T4_T5_mT6_P12ihipStream_tbENKUlT_T0_E_clISt17integral_constantIbLb0EESX_EEDaSS_ST_EUlSS_E_NS1_11comp_targetILNS1_3genE2ELNS1_11target_archE906ELNS1_3gpuE6ELNS1_3repE0EEENS1_30default_config_static_selectorELNS0_4arch9wavefront6targetE1EEEvT1_,"axG",@progbits,_ZN7rocprim17ROCPRIM_400000_NS6detail17trampoline_kernelINS0_14default_configENS1_20scan_config_selectorIfEEZZNS1_9scan_implILNS1_25lookback_scan_determinismE0ELb1ELb1ES3_N6thrust23THRUST_200600_302600_NS6detail15normal_iteratorINS9_10device_ptrIKfEEEENSB_INSC_IfEEEEfNS9_4plusIvEEfEEDaPvRmT3_T4_T5_mT6_P12ihipStream_tbENKUlT_T0_E_clISt17integral_constantIbLb0EESX_EEDaSS_ST_EUlSS_E_NS1_11comp_targetILNS1_3genE2ELNS1_11target_archE906ELNS1_3gpuE6ELNS1_3repE0EEENS1_30default_config_static_selectorELNS0_4arch9wavefront6targetE1EEEvT1_,comdat
	.protected	_ZN7rocprim17ROCPRIM_400000_NS6detail17trampoline_kernelINS0_14default_configENS1_20scan_config_selectorIfEEZZNS1_9scan_implILNS1_25lookback_scan_determinismE0ELb1ELb1ES3_N6thrust23THRUST_200600_302600_NS6detail15normal_iteratorINS9_10device_ptrIKfEEEENSB_INSC_IfEEEEfNS9_4plusIvEEfEEDaPvRmT3_T4_T5_mT6_P12ihipStream_tbENKUlT_T0_E_clISt17integral_constantIbLb0EESX_EEDaSS_ST_EUlSS_E_NS1_11comp_targetILNS1_3genE2ELNS1_11target_archE906ELNS1_3gpuE6ELNS1_3repE0EEENS1_30default_config_static_selectorELNS0_4arch9wavefront6targetE1EEEvT1_ ; -- Begin function _ZN7rocprim17ROCPRIM_400000_NS6detail17trampoline_kernelINS0_14default_configENS1_20scan_config_selectorIfEEZZNS1_9scan_implILNS1_25lookback_scan_determinismE0ELb1ELb1ES3_N6thrust23THRUST_200600_302600_NS6detail15normal_iteratorINS9_10device_ptrIKfEEEENSB_INSC_IfEEEEfNS9_4plusIvEEfEEDaPvRmT3_T4_T5_mT6_P12ihipStream_tbENKUlT_T0_E_clISt17integral_constantIbLb0EESX_EEDaSS_ST_EUlSS_E_NS1_11comp_targetILNS1_3genE2ELNS1_11target_archE906ELNS1_3gpuE6ELNS1_3repE0EEENS1_30default_config_static_selectorELNS0_4arch9wavefront6targetE1EEEvT1_
	.globl	_ZN7rocprim17ROCPRIM_400000_NS6detail17trampoline_kernelINS0_14default_configENS1_20scan_config_selectorIfEEZZNS1_9scan_implILNS1_25lookback_scan_determinismE0ELb1ELb1ES3_N6thrust23THRUST_200600_302600_NS6detail15normal_iteratorINS9_10device_ptrIKfEEEENSB_INSC_IfEEEEfNS9_4plusIvEEfEEDaPvRmT3_T4_T5_mT6_P12ihipStream_tbENKUlT_T0_E_clISt17integral_constantIbLb0EESX_EEDaSS_ST_EUlSS_E_NS1_11comp_targetILNS1_3genE2ELNS1_11target_archE906ELNS1_3gpuE6ELNS1_3repE0EEENS1_30default_config_static_selectorELNS0_4arch9wavefront6targetE1EEEvT1_
	.p2align	8
	.type	_ZN7rocprim17ROCPRIM_400000_NS6detail17trampoline_kernelINS0_14default_configENS1_20scan_config_selectorIfEEZZNS1_9scan_implILNS1_25lookback_scan_determinismE0ELb1ELb1ES3_N6thrust23THRUST_200600_302600_NS6detail15normal_iteratorINS9_10device_ptrIKfEEEENSB_INSC_IfEEEEfNS9_4plusIvEEfEEDaPvRmT3_T4_T5_mT6_P12ihipStream_tbENKUlT_T0_E_clISt17integral_constantIbLb0EESX_EEDaSS_ST_EUlSS_E_NS1_11comp_targetILNS1_3genE2ELNS1_11target_archE906ELNS1_3gpuE6ELNS1_3repE0EEENS1_30default_config_static_selectorELNS0_4arch9wavefront6targetE1EEEvT1_,@function
_ZN7rocprim17ROCPRIM_400000_NS6detail17trampoline_kernelINS0_14default_configENS1_20scan_config_selectorIfEEZZNS1_9scan_implILNS1_25lookback_scan_determinismE0ELb1ELb1ES3_N6thrust23THRUST_200600_302600_NS6detail15normal_iteratorINS9_10device_ptrIKfEEEENSB_INSC_IfEEEEfNS9_4plusIvEEfEEDaPvRmT3_T4_T5_mT6_P12ihipStream_tbENKUlT_T0_E_clISt17integral_constantIbLb0EESX_EEDaSS_ST_EUlSS_E_NS1_11comp_targetILNS1_3genE2ELNS1_11target_archE906ELNS1_3gpuE6ELNS1_3repE0EEENS1_30default_config_static_selectorELNS0_4arch9wavefront6targetE1EEEvT1_: ; @_ZN7rocprim17ROCPRIM_400000_NS6detail17trampoline_kernelINS0_14default_configENS1_20scan_config_selectorIfEEZZNS1_9scan_implILNS1_25lookback_scan_determinismE0ELb1ELb1ES3_N6thrust23THRUST_200600_302600_NS6detail15normal_iteratorINS9_10device_ptrIKfEEEENSB_INSC_IfEEEEfNS9_4plusIvEEfEEDaPvRmT3_T4_T5_mT6_P12ihipStream_tbENKUlT_T0_E_clISt17integral_constantIbLb0EESX_EEDaSS_ST_EUlSS_E_NS1_11comp_targetILNS1_3genE2ELNS1_11target_archE906ELNS1_3gpuE6ELNS1_3repE0EEENS1_30default_config_static_selectorELNS0_4arch9wavefront6targetE1EEEvT1_
; %bb.0:
	.section	.rodata,"a",@progbits
	.p2align	6, 0x0
	.amdhsa_kernel _ZN7rocprim17ROCPRIM_400000_NS6detail17trampoline_kernelINS0_14default_configENS1_20scan_config_selectorIfEEZZNS1_9scan_implILNS1_25lookback_scan_determinismE0ELb1ELb1ES3_N6thrust23THRUST_200600_302600_NS6detail15normal_iteratorINS9_10device_ptrIKfEEEENSB_INSC_IfEEEEfNS9_4plusIvEEfEEDaPvRmT3_T4_T5_mT6_P12ihipStream_tbENKUlT_T0_E_clISt17integral_constantIbLb0EESX_EEDaSS_ST_EUlSS_E_NS1_11comp_targetILNS1_3genE2ELNS1_11target_archE906ELNS1_3gpuE6ELNS1_3repE0EEENS1_30default_config_static_selectorELNS0_4arch9wavefront6targetE1EEEvT1_
		.amdhsa_group_segment_fixed_size 0
		.amdhsa_private_segment_fixed_size 0
		.amdhsa_kernarg_size 96
		.amdhsa_user_sgpr_count 2
		.amdhsa_user_sgpr_dispatch_ptr 0
		.amdhsa_user_sgpr_queue_ptr 0
		.amdhsa_user_sgpr_kernarg_segment_ptr 1
		.amdhsa_user_sgpr_dispatch_id 0
		.amdhsa_user_sgpr_kernarg_preload_length 0
		.amdhsa_user_sgpr_kernarg_preload_offset 0
		.amdhsa_user_sgpr_private_segment_size 0
		.amdhsa_uses_dynamic_stack 0
		.amdhsa_enable_private_segment 0
		.amdhsa_system_sgpr_workgroup_id_x 1
		.amdhsa_system_sgpr_workgroup_id_y 0
		.amdhsa_system_sgpr_workgroup_id_z 0
		.amdhsa_system_sgpr_workgroup_info 0
		.amdhsa_system_vgpr_workitem_id 0
		.amdhsa_next_free_vgpr 1
		.amdhsa_next_free_sgpr 0
		.amdhsa_accum_offset 4
		.amdhsa_reserve_vcc 0
		.amdhsa_float_round_mode_32 0
		.amdhsa_float_round_mode_16_64 0
		.amdhsa_float_denorm_mode_32 3
		.amdhsa_float_denorm_mode_16_64 3
		.amdhsa_dx10_clamp 1
		.amdhsa_ieee_mode 1
		.amdhsa_fp16_overflow 0
		.amdhsa_tg_split 0
		.amdhsa_exception_fp_ieee_invalid_op 0
		.amdhsa_exception_fp_denorm_src 0
		.amdhsa_exception_fp_ieee_div_zero 0
		.amdhsa_exception_fp_ieee_overflow 0
		.amdhsa_exception_fp_ieee_underflow 0
		.amdhsa_exception_fp_ieee_inexact 0
		.amdhsa_exception_int_div_zero 0
	.end_amdhsa_kernel
	.section	.text._ZN7rocprim17ROCPRIM_400000_NS6detail17trampoline_kernelINS0_14default_configENS1_20scan_config_selectorIfEEZZNS1_9scan_implILNS1_25lookback_scan_determinismE0ELb1ELb1ES3_N6thrust23THRUST_200600_302600_NS6detail15normal_iteratorINS9_10device_ptrIKfEEEENSB_INSC_IfEEEEfNS9_4plusIvEEfEEDaPvRmT3_T4_T5_mT6_P12ihipStream_tbENKUlT_T0_E_clISt17integral_constantIbLb0EESX_EEDaSS_ST_EUlSS_E_NS1_11comp_targetILNS1_3genE2ELNS1_11target_archE906ELNS1_3gpuE6ELNS1_3repE0EEENS1_30default_config_static_selectorELNS0_4arch9wavefront6targetE1EEEvT1_,"axG",@progbits,_ZN7rocprim17ROCPRIM_400000_NS6detail17trampoline_kernelINS0_14default_configENS1_20scan_config_selectorIfEEZZNS1_9scan_implILNS1_25lookback_scan_determinismE0ELb1ELb1ES3_N6thrust23THRUST_200600_302600_NS6detail15normal_iteratorINS9_10device_ptrIKfEEEENSB_INSC_IfEEEEfNS9_4plusIvEEfEEDaPvRmT3_T4_T5_mT6_P12ihipStream_tbENKUlT_T0_E_clISt17integral_constantIbLb0EESX_EEDaSS_ST_EUlSS_E_NS1_11comp_targetILNS1_3genE2ELNS1_11target_archE906ELNS1_3gpuE6ELNS1_3repE0EEENS1_30default_config_static_selectorELNS0_4arch9wavefront6targetE1EEEvT1_,comdat
.Lfunc_end6:
	.size	_ZN7rocprim17ROCPRIM_400000_NS6detail17trampoline_kernelINS0_14default_configENS1_20scan_config_selectorIfEEZZNS1_9scan_implILNS1_25lookback_scan_determinismE0ELb1ELb1ES3_N6thrust23THRUST_200600_302600_NS6detail15normal_iteratorINS9_10device_ptrIKfEEEENSB_INSC_IfEEEEfNS9_4plusIvEEfEEDaPvRmT3_T4_T5_mT6_P12ihipStream_tbENKUlT_T0_E_clISt17integral_constantIbLb0EESX_EEDaSS_ST_EUlSS_E_NS1_11comp_targetILNS1_3genE2ELNS1_11target_archE906ELNS1_3gpuE6ELNS1_3repE0EEENS1_30default_config_static_selectorELNS0_4arch9wavefront6targetE1EEEvT1_, .Lfunc_end6-_ZN7rocprim17ROCPRIM_400000_NS6detail17trampoline_kernelINS0_14default_configENS1_20scan_config_selectorIfEEZZNS1_9scan_implILNS1_25lookback_scan_determinismE0ELb1ELb1ES3_N6thrust23THRUST_200600_302600_NS6detail15normal_iteratorINS9_10device_ptrIKfEEEENSB_INSC_IfEEEEfNS9_4plusIvEEfEEDaPvRmT3_T4_T5_mT6_P12ihipStream_tbENKUlT_T0_E_clISt17integral_constantIbLb0EESX_EEDaSS_ST_EUlSS_E_NS1_11comp_targetILNS1_3genE2ELNS1_11target_archE906ELNS1_3gpuE6ELNS1_3repE0EEENS1_30default_config_static_selectorELNS0_4arch9wavefront6targetE1EEEvT1_
                                        ; -- End function
	.section	.AMDGPU.csdata,"",@progbits
; Kernel info:
; codeLenInByte = 0
; NumSgprs: 6
; NumVgprs: 0
; NumAgprs: 0
; TotalNumVgprs: 0
; ScratchSize: 0
; MemoryBound: 0
; FloatMode: 240
; IeeeMode: 1
; LDSByteSize: 0 bytes/workgroup (compile time only)
; SGPRBlocks: 0
; VGPRBlocks: 0
; NumSGPRsForWavesPerEU: 6
; NumVGPRsForWavesPerEU: 1
; AccumOffset: 4
; Occupancy: 8
; WaveLimiterHint : 0
; COMPUTE_PGM_RSRC2:SCRATCH_EN: 0
; COMPUTE_PGM_RSRC2:USER_SGPR: 2
; COMPUTE_PGM_RSRC2:TRAP_HANDLER: 0
; COMPUTE_PGM_RSRC2:TGID_X_EN: 1
; COMPUTE_PGM_RSRC2:TGID_Y_EN: 0
; COMPUTE_PGM_RSRC2:TGID_Z_EN: 0
; COMPUTE_PGM_RSRC2:TIDIG_COMP_CNT: 0
; COMPUTE_PGM_RSRC3_GFX90A:ACCUM_OFFSET: 0
; COMPUTE_PGM_RSRC3_GFX90A:TG_SPLIT: 0
	.section	.text._ZN7rocprim17ROCPRIM_400000_NS6detail17trampoline_kernelINS0_14default_configENS1_20scan_config_selectorIfEEZZNS1_9scan_implILNS1_25lookback_scan_determinismE0ELb1ELb1ES3_N6thrust23THRUST_200600_302600_NS6detail15normal_iteratorINS9_10device_ptrIKfEEEENSB_INSC_IfEEEEfNS9_4plusIvEEfEEDaPvRmT3_T4_T5_mT6_P12ihipStream_tbENKUlT_T0_E_clISt17integral_constantIbLb0EESX_EEDaSS_ST_EUlSS_E_NS1_11comp_targetILNS1_3genE10ELNS1_11target_archE1201ELNS1_3gpuE5ELNS1_3repE0EEENS1_30default_config_static_selectorELNS0_4arch9wavefront6targetE1EEEvT1_,"axG",@progbits,_ZN7rocprim17ROCPRIM_400000_NS6detail17trampoline_kernelINS0_14default_configENS1_20scan_config_selectorIfEEZZNS1_9scan_implILNS1_25lookback_scan_determinismE0ELb1ELb1ES3_N6thrust23THRUST_200600_302600_NS6detail15normal_iteratorINS9_10device_ptrIKfEEEENSB_INSC_IfEEEEfNS9_4plusIvEEfEEDaPvRmT3_T4_T5_mT6_P12ihipStream_tbENKUlT_T0_E_clISt17integral_constantIbLb0EESX_EEDaSS_ST_EUlSS_E_NS1_11comp_targetILNS1_3genE10ELNS1_11target_archE1201ELNS1_3gpuE5ELNS1_3repE0EEENS1_30default_config_static_selectorELNS0_4arch9wavefront6targetE1EEEvT1_,comdat
	.protected	_ZN7rocprim17ROCPRIM_400000_NS6detail17trampoline_kernelINS0_14default_configENS1_20scan_config_selectorIfEEZZNS1_9scan_implILNS1_25lookback_scan_determinismE0ELb1ELb1ES3_N6thrust23THRUST_200600_302600_NS6detail15normal_iteratorINS9_10device_ptrIKfEEEENSB_INSC_IfEEEEfNS9_4plusIvEEfEEDaPvRmT3_T4_T5_mT6_P12ihipStream_tbENKUlT_T0_E_clISt17integral_constantIbLb0EESX_EEDaSS_ST_EUlSS_E_NS1_11comp_targetILNS1_3genE10ELNS1_11target_archE1201ELNS1_3gpuE5ELNS1_3repE0EEENS1_30default_config_static_selectorELNS0_4arch9wavefront6targetE1EEEvT1_ ; -- Begin function _ZN7rocprim17ROCPRIM_400000_NS6detail17trampoline_kernelINS0_14default_configENS1_20scan_config_selectorIfEEZZNS1_9scan_implILNS1_25lookback_scan_determinismE0ELb1ELb1ES3_N6thrust23THRUST_200600_302600_NS6detail15normal_iteratorINS9_10device_ptrIKfEEEENSB_INSC_IfEEEEfNS9_4plusIvEEfEEDaPvRmT3_T4_T5_mT6_P12ihipStream_tbENKUlT_T0_E_clISt17integral_constantIbLb0EESX_EEDaSS_ST_EUlSS_E_NS1_11comp_targetILNS1_3genE10ELNS1_11target_archE1201ELNS1_3gpuE5ELNS1_3repE0EEENS1_30default_config_static_selectorELNS0_4arch9wavefront6targetE1EEEvT1_
	.globl	_ZN7rocprim17ROCPRIM_400000_NS6detail17trampoline_kernelINS0_14default_configENS1_20scan_config_selectorIfEEZZNS1_9scan_implILNS1_25lookback_scan_determinismE0ELb1ELb1ES3_N6thrust23THRUST_200600_302600_NS6detail15normal_iteratorINS9_10device_ptrIKfEEEENSB_INSC_IfEEEEfNS9_4plusIvEEfEEDaPvRmT3_T4_T5_mT6_P12ihipStream_tbENKUlT_T0_E_clISt17integral_constantIbLb0EESX_EEDaSS_ST_EUlSS_E_NS1_11comp_targetILNS1_3genE10ELNS1_11target_archE1201ELNS1_3gpuE5ELNS1_3repE0EEENS1_30default_config_static_selectorELNS0_4arch9wavefront6targetE1EEEvT1_
	.p2align	8
	.type	_ZN7rocprim17ROCPRIM_400000_NS6detail17trampoline_kernelINS0_14default_configENS1_20scan_config_selectorIfEEZZNS1_9scan_implILNS1_25lookback_scan_determinismE0ELb1ELb1ES3_N6thrust23THRUST_200600_302600_NS6detail15normal_iteratorINS9_10device_ptrIKfEEEENSB_INSC_IfEEEEfNS9_4plusIvEEfEEDaPvRmT3_T4_T5_mT6_P12ihipStream_tbENKUlT_T0_E_clISt17integral_constantIbLb0EESX_EEDaSS_ST_EUlSS_E_NS1_11comp_targetILNS1_3genE10ELNS1_11target_archE1201ELNS1_3gpuE5ELNS1_3repE0EEENS1_30default_config_static_selectorELNS0_4arch9wavefront6targetE1EEEvT1_,@function
_ZN7rocprim17ROCPRIM_400000_NS6detail17trampoline_kernelINS0_14default_configENS1_20scan_config_selectorIfEEZZNS1_9scan_implILNS1_25lookback_scan_determinismE0ELb1ELb1ES3_N6thrust23THRUST_200600_302600_NS6detail15normal_iteratorINS9_10device_ptrIKfEEEENSB_INSC_IfEEEEfNS9_4plusIvEEfEEDaPvRmT3_T4_T5_mT6_P12ihipStream_tbENKUlT_T0_E_clISt17integral_constantIbLb0EESX_EEDaSS_ST_EUlSS_E_NS1_11comp_targetILNS1_3genE10ELNS1_11target_archE1201ELNS1_3gpuE5ELNS1_3repE0EEENS1_30default_config_static_selectorELNS0_4arch9wavefront6targetE1EEEvT1_: ; @_ZN7rocprim17ROCPRIM_400000_NS6detail17trampoline_kernelINS0_14default_configENS1_20scan_config_selectorIfEEZZNS1_9scan_implILNS1_25lookback_scan_determinismE0ELb1ELb1ES3_N6thrust23THRUST_200600_302600_NS6detail15normal_iteratorINS9_10device_ptrIKfEEEENSB_INSC_IfEEEEfNS9_4plusIvEEfEEDaPvRmT3_T4_T5_mT6_P12ihipStream_tbENKUlT_T0_E_clISt17integral_constantIbLb0EESX_EEDaSS_ST_EUlSS_E_NS1_11comp_targetILNS1_3genE10ELNS1_11target_archE1201ELNS1_3gpuE5ELNS1_3repE0EEENS1_30default_config_static_selectorELNS0_4arch9wavefront6targetE1EEEvT1_
; %bb.0:
	.section	.rodata,"a",@progbits
	.p2align	6, 0x0
	.amdhsa_kernel _ZN7rocprim17ROCPRIM_400000_NS6detail17trampoline_kernelINS0_14default_configENS1_20scan_config_selectorIfEEZZNS1_9scan_implILNS1_25lookback_scan_determinismE0ELb1ELb1ES3_N6thrust23THRUST_200600_302600_NS6detail15normal_iteratorINS9_10device_ptrIKfEEEENSB_INSC_IfEEEEfNS9_4plusIvEEfEEDaPvRmT3_T4_T5_mT6_P12ihipStream_tbENKUlT_T0_E_clISt17integral_constantIbLb0EESX_EEDaSS_ST_EUlSS_E_NS1_11comp_targetILNS1_3genE10ELNS1_11target_archE1201ELNS1_3gpuE5ELNS1_3repE0EEENS1_30default_config_static_selectorELNS0_4arch9wavefront6targetE1EEEvT1_
		.amdhsa_group_segment_fixed_size 0
		.amdhsa_private_segment_fixed_size 0
		.amdhsa_kernarg_size 96
		.amdhsa_user_sgpr_count 2
		.amdhsa_user_sgpr_dispatch_ptr 0
		.amdhsa_user_sgpr_queue_ptr 0
		.amdhsa_user_sgpr_kernarg_segment_ptr 1
		.amdhsa_user_sgpr_dispatch_id 0
		.amdhsa_user_sgpr_kernarg_preload_length 0
		.amdhsa_user_sgpr_kernarg_preload_offset 0
		.amdhsa_user_sgpr_private_segment_size 0
		.amdhsa_uses_dynamic_stack 0
		.amdhsa_enable_private_segment 0
		.amdhsa_system_sgpr_workgroup_id_x 1
		.amdhsa_system_sgpr_workgroup_id_y 0
		.amdhsa_system_sgpr_workgroup_id_z 0
		.amdhsa_system_sgpr_workgroup_info 0
		.amdhsa_system_vgpr_workitem_id 0
		.amdhsa_next_free_vgpr 1
		.amdhsa_next_free_sgpr 0
		.amdhsa_accum_offset 4
		.amdhsa_reserve_vcc 0
		.amdhsa_float_round_mode_32 0
		.amdhsa_float_round_mode_16_64 0
		.amdhsa_float_denorm_mode_32 3
		.amdhsa_float_denorm_mode_16_64 3
		.amdhsa_dx10_clamp 1
		.amdhsa_ieee_mode 1
		.amdhsa_fp16_overflow 0
		.amdhsa_tg_split 0
		.amdhsa_exception_fp_ieee_invalid_op 0
		.amdhsa_exception_fp_denorm_src 0
		.amdhsa_exception_fp_ieee_div_zero 0
		.amdhsa_exception_fp_ieee_overflow 0
		.amdhsa_exception_fp_ieee_underflow 0
		.amdhsa_exception_fp_ieee_inexact 0
		.amdhsa_exception_int_div_zero 0
	.end_amdhsa_kernel
	.section	.text._ZN7rocprim17ROCPRIM_400000_NS6detail17trampoline_kernelINS0_14default_configENS1_20scan_config_selectorIfEEZZNS1_9scan_implILNS1_25lookback_scan_determinismE0ELb1ELb1ES3_N6thrust23THRUST_200600_302600_NS6detail15normal_iteratorINS9_10device_ptrIKfEEEENSB_INSC_IfEEEEfNS9_4plusIvEEfEEDaPvRmT3_T4_T5_mT6_P12ihipStream_tbENKUlT_T0_E_clISt17integral_constantIbLb0EESX_EEDaSS_ST_EUlSS_E_NS1_11comp_targetILNS1_3genE10ELNS1_11target_archE1201ELNS1_3gpuE5ELNS1_3repE0EEENS1_30default_config_static_selectorELNS0_4arch9wavefront6targetE1EEEvT1_,"axG",@progbits,_ZN7rocprim17ROCPRIM_400000_NS6detail17trampoline_kernelINS0_14default_configENS1_20scan_config_selectorIfEEZZNS1_9scan_implILNS1_25lookback_scan_determinismE0ELb1ELb1ES3_N6thrust23THRUST_200600_302600_NS6detail15normal_iteratorINS9_10device_ptrIKfEEEENSB_INSC_IfEEEEfNS9_4plusIvEEfEEDaPvRmT3_T4_T5_mT6_P12ihipStream_tbENKUlT_T0_E_clISt17integral_constantIbLb0EESX_EEDaSS_ST_EUlSS_E_NS1_11comp_targetILNS1_3genE10ELNS1_11target_archE1201ELNS1_3gpuE5ELNS1_3repE0EEENS1_30default_config_static_selectorELNS0_4arch9wavefront6targetE1EEEvT1_,comdat
.Lfunc_end7:
	.size	_ZN7rocprim17ROCPRIM_400000_NS6detail17trampoline_kernelINS0_14default_configENS1_20scan_config_selectorIfEEZZNS1_9scan_implILNS1_25lookback_scan_determinismE0ELb1ELb1ES3_N6thrust23THRUST_200600_302600_NS6detail15normal_iteratorINS9_10device_ptrIKfEEEENSB_INSC_IfEEEEfNS9_4plusIvEEfEEDaPvRmT3_T4_T5_mT6_P12ihipStream_tbENKUlT_T0_E_clISt17integral_constantIbLb0EESX_EEDaSS_ST_EUlSS_E_NS1_11comp_targetILNS1_3genE10ELNS1_11target_archE1201ELNS1_3gpuE5ELNS1_3repE0EEENS1_30default_config_static_selectorELNS0_4arch9wavefront6targetE1EEEvT1_, .Lfunc_end7-_ZN7rocprim17ROCPRIM_400000_NS6detail17trampoline_kernelINS0_14default_configENS1_20scan_config_selectorIfEEZZNS1_9scan_implILNS1_25lookback_scan_determinismE0ELb1ELb1ES3_N6thrust23THRUST_200600_302600_NS6detail15normal_iteratorINS9_10device_ptrIKfEEEENSB_INSC_IfEEEEfNS9_4plusIvEEfEEDaPvRmT3_T4_T5_mT6_P12ihipStream_tbENKUlT_T0_E_clISt17integral_constantIbLb0EESX_EEDaSS_ST_EUlSS_E_NS1_11comp_targetILNS1_3genE10ELNS1_11target_archE1201ELNS1_3gpuE5ELNS1_3repE0EEENS1_30default_config_static_selectorELNS0_4arch9wavefront6targetE1EEEvT1_
                                        ; -- End function
	.section	.AMDGPU.csdata,"",@progbits
; Kernel info:
; codeLenInByte = 0
; NumSgprs: 6
; NumVgprs: 0
; NumAgprs: 0
; TotalNumVgprs: 0
; ScratchSize: 0
; MemoryBound: 0
; FloatMode: 240
; IeeeMode: 1
; LDSByteSize: 0 bytes/workgroup (compile time only)
; SGPRBlocks: 0
; VGPRBlocks: 0
; NumSGPRsForWavesPerEU: 6
; NumVGPRsForWavesPerEU: 1
; AccumOffset: 4
; Occupancy: 8
; WaveLimiterHint : 0
; COMPUTE_PGM_RSRC2:SCRATCH_EN: 0
; COMPUTE_PGM_RSRC2:USER_SGPR: 2
; COMPUTE_PGM_RSRC2:TRAP_HANDLER: 0
; COMPUTE_PGM_RSRC2:TGID_X_EN: 1
; COMPUTE_PGM_RSRC2:TGID_Y_EN: 0
; COMPUTE_PGM_RSRC2:TGID_Z_EN: 0
; COMPUTE_PGM_RSRC2:TIDIG_COMP_CNT: 0
; COMPUTE_PGM_RSRC3_GFX90A:ACCUM_OFFSET: 0
; COMPUTE_PGM_RSRC3_GFX90A:TG_SPLIT: 0
	.section	.text._ZN7rocprim17ROCPRIM_400000_NS6detail17trampoline_kernelINS0_14default_configENS1_20scan_config_selectorIfEEZZNS1_9scan_implILNS1_25lookback_scan_determinismE0ELb1ELb1ES3_N6thrust23THRUST_200600_302600_NS6detail15normal_iteratorINS9_10device_ptrIKfEEEENSB_INSC_IfEEEEfNS9_4plusIvEEfEEDaPvRmT3_T4_T5_mT6_P12ihipStream_tbENKUlT_T0_E_clISt17integral_constantIbLb0EESX_EEDaSS_ST_EUlSS_E_NS1_11comp_targetILNS1_3genE10ELNS1_11target_archE1200ELNS1_3gpuE4ELNS1_3repE0EEENS1_30default_config_static_selectorELNS0_4arch9wavefront6targetE1EEEvT1_,"axG",@progbits,_ZN7rocprim17ROCPRIM_400000_NS6detail17trampoline_kernelINS0_14default_configENS1_20scan_config_selectorIfEEZZNS1_9scan_implILNS1_25lookback_scan_determinismE0ELb1ELb1ES3_N6thrust23THRUST_200600_302600_NS6detail15normal_iteratorINS9_10device_ptrIKfEEEENSB_INSC_IfEEEEfNS9_4plusIvEEfEEDaPvRmT3_T4_T5_mT6_P12ihipStream_tbENKUlT_T0_E_clISt17integral_constantIbLb0EESX_EEDaSS_ST_EUlSS_E_NS1_11comp_targetILNS1_3genE10ELNS1_11target_archE1200ELNS1_3gpuE4ELNS1_3repE0EEENS1_30default_config_static_selectorELNS0_4arch9wavefront6targetE1EEEvT1_,comdat
	.protected	_ZN7rocprim17ROCPRIM_400000_NS6detail17trampoline_kernelINS0_14default_configENS1_20scan_config_selectorIfEEZZNS1_9scan_implILNS1_25lookback_scan_determinismE0ELb1ELb1ES3_N6thrust23THRUST_200600_302600_NS6detail15normal_iteratorINS9_10device_ptrIKfEEEENSB_INSC_IfEEEEfNS9_4plusIvEEfEEDaPvRmT3_T4_T5_mT6_P12ihipStream_tbENKUlT_T0_E_clISt17integral_constantIbLb0EESX_EEDaSS_ST_EUlSS_E_NS1_11comp_targetILNS1_3genE10ELNS1_11target_archE1200ELNS1_3gpuE4ELNS1_3repE0EEENS1_30default_config_static_selectorELNS0_4arch9wavefront6targetE1EEEvT1_ ; -- Begin function _ZN7rocprim17ROCPRIM_400000_NS6detail17trampoline_kernelINS0_14default_configENS1_20scan_config_selectorIfEEZZNS1_9scan_implILNS1_25lookback_scan_determinismE0ELb1ELb1ES3_N6thrust23THRUST_200600_302600_NS6detail15normal_iteratorINS9_10device_ptrIKfEEEENSB_INSC_IfEEEEfNS9_4plusIvEEfEEDaPvRmT3_T4_T5_mT6_P12ihipStream_tbENKUlT_T0_E_clISt17integral_constantIbLb0EESX_EEDaSS_ST_EUlSS_E_NS1_11comp_targetILNS1_3genE10ELNS1_11target_archE1200ELNS1_3gpuE4ELNS1_3repE0EEENS1_30default_config_static_selectorELNS0_4arch9wavefront6targetE1EEEvT1_
	.globl	_ZN7rocprim17ROCPRIM_400000_NS6detail17trampoline_kernelINS0_14default_configENS1_20scan_config_selectorIfEEZZNS1_9scan_implILNS1_25lookback_scan_determinismE0ELb1ELb1ES3_N6thrust23THRUST_200600_302600_NS6detail15normal_iteratorINS9_10device_ptrIKfEEEENSB_INSC_IfEEEEfNS9_4plusIvEEfEEDaPvRmT3_T4_T5_mT6_P12ihipStream_tbENKUlT_T0_E_clISt17integral_constantIbLb0EESX_EEDaSS_ST_EUlSS_E_NS1_11comp_targetILNS1_3genE10ELNS1_11target_archE1200ELNS1_3gpuE4ELNS1_3repE0EEENS1_30default_config_static_selectorELNS0_4arch9wavefront6targetE1EEEvT1_
	.p2align	8
	.type	_ZN7rocprim17ROCPRIM_400000_NS6detail17trampoline_kernelINS0_14default_configENS1_20scan_config_selectorIfEEZZNS1_9scan_implILNS1_25lookback_scan_determinismE0ELb1ELb1ES3_N6thrust23THRUST_200600_302600_NS6detail15normal_iteratorINS9_10device_ptrIKfEEEENSB_INSC_IfEEEEfNS9_4plusIvEEfEEDaPvRmT3_T4_T5_mT6_P12ihipStream_tbENKUlT_T0_E_clISt17integral_constantIbLb0EESX_EEDaSS_ST_EUlSS_E_NS1_11comp_targetILNS1_3genE10ELNS1_11target_archE1200ELNS1_3gpuE4ELNS1_3repE0EEENS1_30default_config_static_selectorELNS0_4arch9wavefront6targetE1EEEvT1_,@function
_ZN7rocprim17ROCPRIM_400000_NS6detail17trampoline_kernelINS0_14default_configENS1_20scan_config_selectorIfEEZZNS1_9scan_implILNS1_25lookback_scan_determinismE0ELb1ELb1ES3_N6thrust23THRUST_200600_302600_NS6detail15normal_iteratorINS9_10device_ptrIKfEEEENSB_INSC_IfEEEEfNS9_4plusIvEEfEEDaPvRmT3_T4_T5_mT6_P12ihipStream_tbENKUlT_T0_E_clISt17integral_constantIbLb0EESX_EEDaSS_ST_EUlSS_E_NS1_11comp_targetILNS1_3genE10ELNS1_11target_archE1200ELNS1_3gpuE4ELNS1_3repE0EEENS1_30default_config_static_selectorELNS0_4arch9wavefront6targetE1EEEvT1_: ; @_ZN7rocprim17ROCPRIM_400000_NS6detail17trampoline_kernelINS0_14default_configENS1_20scan_config_selectorIfEEZZNS1_9scan_implILNS1_25lookback_scan_determinismE0ELb1ELb1ES3_N6thrust23THRUST_200600_302600_NS6detail15normal_iteratorINS9_10device_ptrIKfEEEENSB_INSC_IfEEEEfNS9_4plusIvEEfEEDaPvRmT3_T4_T5_mT6_P12ihipStream_tbENKUlT_T0_E_clISt17integral_constantIbLb0EESX_EEDaSS_ST_EUlSS_E_NS1_11comp_targetILNS1_3genE10ELNS1_11target_archE1200ELNS1_3gpuE4ELNS1_3repE0EEENS1_30default_config_static_selectorELNS0_4arch9wavefront6targetE1EEEvT1_
; %bb.0:
	.section	.rodata,"a",@progbits
	.p2align	6, 0x0
	.amdhsa_kernel _ZN7rocprim17ROCPRIM_400000_NS6detail17trampoline_kernelINS0_14default_configENS1_20scan_config_selectorIfEEZZNS1_9scan_implILNS1_25lookback_scan_determinismE0ELb1ELb1ES3_N6thrust23THRUST_200600_302600_NS6detail15normal_iteratorINS9_10device_ptrIKfEEEENSB_INSC_IfEEEEfNS9_4plusIvEEfEEDaPvRmT3_T4_T5_mT6_P12ihipStream_tbENKUlT_T0_E_clISt17integral_constantIbLb0EESX_EEDaSS_ST_EUlSS_E_NS1_11comp_targetILNS1_3genE10ELNS1_11target_archE1200ELNS1_3gpuE4ELNS1_3repE0EEENS1_30default_config_static_selectorELNS0_4arch9wavefront6targetE1EEEvT1_
		.amdhsa_group_segment_fixed_size 0
		.amdhsa_private_segment_fixed_size 0
		.amdhsa_kernarg_size 96
		.amdhsa_user_sgpr_count 2
		.amdhsa_user_sgpr_dispatch_ptr 0
		.amdhsa_user_sgpr_queue_ptr 0
		.amdhsa_user_sgpr_kernarg_segment_ptr 1
		.amdhsa_user_sgpr_dispatch_id 0
		.amdhsa_user_sgpr_kernarg_preload_length 0
		.amdhsa_user_sgpr_kernarg_preload_offset 0
		.amdhsa_user_sgpr_private_segment_size 0
		.amdhsa_uses_dynamic_stack 0
		.amdhsa_enable_private_segment 0
		.amdhsa_system_sgpr_workgroup_id_x 1
		.amdhsa_system_sgpr_workgroup_id_y 0
		.amdhsa_system_sgpr_workgroup_id_z 0
		.amdhsa_system_sgpr_workgroup_info 0
		.amdhsa_system_vgpr_workitem_id 0
		.amdhsa_next_free_vgpr 1
		.amdhsa_next_free_sgpr 0
		.amdhsa_accum_offset 4
		.amdhsa_reserve_vcc 0
		.amdhsa_float_round_mode_32 0
		.amdhsa_float_round_mode_16_64 0
		.amdhsa_float_denorm_mode_32 3
		.amdhsa_float_denorm_mode_16_64 3
		.amdhsa_dx10_clamp 1
		.amdhsa_ieee_mode 1
		.amdhsa_fp16_overflow 0
		.amdhsa_tg_split 0
		.amdhsa_exception_fp_ieee_invalid_op 0
		.amdhsa_exception_fp_denorm_src 0
		.amdhsa_exception_fp_ieee_div_zero 0
		.amdhsa_exception_fp_ieee_overflow 0
		.amdhsa_exception_fp_ieee_underflow 0
		.amdhsa_exception_fp_ieee_inexact 0
		.amdhsa_exception_int_div_zero 0
	.end_amdhsa_kernel
	.section	.text._ZN7rocprim17ROCPRIM_400000_NS6detail17trampoline_kernelINS0_14default_configENS1_20scan_config_selectorIfEEZZNS1_9scan_implILNS1_25lookback_scan_determinismE0ELb1ELb1ES3_N6thrust23THRUST_200600_302600_NS6detail15normal_iteratorINS9_10device_ptrIKfEEEENSB_INSC_IfEEEEfNS9_4plusIvEEfEEDaPvRmT3_T4_T5_mT6_P12ihipStream_tbENKUlT_T0_E_clISt17integral_constantIbLb0EESX_EEDaSS_ST_EUlSS_E_NS1_11comp_targetILNS1_3genE10ELNS1_11target_archE1200ELNS1_3gpuE4ELNS1_3repE0EEENS1_30default_config_static_selectorELNS0_4arch9wavefront6targetE1EEEvT1_,"axG",@progbits,_ZN7rocprim17ROCPRIM_400000_NS6detail17trampoline_kernelINS0_14default_configENS1_20scan_config_selectorIfEEZZNS1_9scan_implILNS1_25lookback_scan_determinismE0ELb1ELb1ES3_N6thrust23THRUST_200600_302600_NS6detail15normal_iteratorINS9_10device_ptrIKfEEEENSB_INSC_IfEEEEfNS9_4plusIvEEfEEDaPvRmT3_T4_T5_mT6_P12ihipStream_tbENKUlT_T0_E_clISt17integral_constantIbLb0EESX_EEDaSS_ST_EUlSS_E_NS1_11comp_targetILNS1_3genE10ELNS1_11target_archE1200ELNS1_3gpuE4ELNS1_3repE0EEENS1_30default_config_static_selectorELNS0_4arch9wavefront6targetE1EEEvT1_,comdat
.Lfunc_end8:
	.size	_ZN7rocprim17ROCPRIM_400000_NS6detail17trampoline_kernelINS0_14default_configENS1_20scan_config_selectorIfEEZZNS1_9scan_implILNS1_25lookback_scan_determinismE0ELb1ELb1ES3_N6thrust23THRUST_200600_302600_NS6detail15normal_iteratorINS9_10device_ptrIKfEEEENSB_INSC_IfEEEEfNS9_4plusIvEEfEEDaPvRmT3_T4_T5_mT6_P12ihipStream_tbENKUlT_T0_E_clISt17integral_constantIbLb0EESX_EEDaSS_ST_EUlSS_E_NS1_11comp_targetILNS1_3genE10ELNS1_11target_archE1200ELNS1_3gpuE4ELNS1_3repE0EEENS1_30default_config_static_selectorELNS0_4arch9wavefront6targetE1EEEvT1_, .Lfunc_end8-_ZN7rocprim17ROCPRIM_400000_NS6detail17trampoline_kernelINS0_14default_configENS1_20scan_config_selectorIfEEZZNS1_9scan_implILNS1_25lookback_scan_determinismE0ELb1ELb1ES3_N6thrust23THRUST_200600_302600_NS6detail15normal_iteratorINS9_10device_ptrIKfEEEENSB_INSC_IfEEEEfNS9_4plusIvEEfEEDaPvRmT3_T4_T5_mT6_P12ihipStream_tbENKUlT_T0_E_clISt17integral_constantIbLb0EESX_EEDaSS_ST_EUlSS_E_NS1_11comp_targetILNS1_3genE10ELNS1_11target_archE1200ELNS1_3gpuE4ELNS1_3repE0EEENS1_30default_config_static_selectorELNS0_4arch9wavefront6targetE1EEEvT1_
                                        ; -- End function
	.section	.AMDGPU.csdata,"",@progbits
; Kernel info:
; codeLenInByte = 0
; NumSgprs: 6
; NumVgprs: 0
; NumAgprs: 0
; TotalNumVgprs: 0
; ScratchSize: 0
; MemoryBound: 0
; FloatMode: 240
; IeeeMode: 1
; LDSByteSize: 0 bytes/workgroup (compile time only)
; SGPRBlocks: 0
; VGPRBlocks: 0
; NumSGPRsForWavesPerEU: 6
; NumVGPRsForWavesPerEU: 1
; AccumOffset: 4
; Occupancy: 8
; WaveLimiterHint : 0
; COMPUTE_PGM_RSRC2:SCRATCH_EN: 0
; COMPUTE_PGM_RSRC2:USER_SGPR: 2
; COMPUTE_PGM_RSRC2:TRAP_HANDLER: 0
; COMPUTE_PGM_RSRC2:TGID_X_EN: 1
; COMPUTE_PGM_RSRC2:TGID_Y_EN: 0
; COMPUTE_PGM_RSRC2:TGID_Z_EN: 0
; COMPUTE_PGM_RSRC2:TIDIG_COMP_CNT: 0
; COMPUTE_PGM_RSRC3_GFX90A:ACCUM_OFFSET: 0
; COMPUTE_PGM_RSRC3_GFX90A:TG_SPLIT: 0
	.section	.text._ZN7rocprim17ROCPRIM_400000_NS6detail17trampoline_kernelINS0_14default_configENS1_20scan_config_selectorIfEEZZNS1_9scan_implILNS1_25lookback_scan_determinismE0ELb1ELb1ES3_N6thrust23THRUST_200600_302600_NS6detail15normal_iteratorINS9_10device_ptrIKfEEEENSB_INSC_IfEEEEfNS9_4plusIvEEfEEDaPvRmT3_T4_T5_mT6_P12ihipStream_tbENKUlT_T0_E_clISt17integral_constantIbLb0EESX_EEDaSS_ST_EUlSS_E_NS1_11comp_targetILNS1_3genE9ELNS1_11target_archE1100ELNS1_3gpuE3ELNS1_3repE0EEENS1_30default_config_static_selectorELNS0_4arch9wavefront6targetE1EEEvT1_,"axG",@progbits,_ZN7rocprim17ROCPRIM_400000_NS6detail17trampoline_kernelINS0_14default_configENS1_20scan_config_selectorIfEEZZNS1_9scan_implILNS1_25lookback_scan_determinismE0ELb1ELb1ES3_N6thrust23THRUST_200600_302600_NS6detail15normal_iteratorINS9_10device_ptrIKfEEEENSB_INSC_IfEEEEfNS9_4plusIvEEfEEDaPvRmT3_T4_T5_mT6_P12ihipStream_tbENKUlT_T0_E_clISt17integral_constantIbLb0EESX_EEDaSS_ST_EUlSS_E_NS1_11comp_targetILNS1_3genE9ELNS1_11target_archE1100ELNS1_3gpuE3ELNS1_3repE0EEENS1_30default_config_static_selectorELNS0_4arch9wavefront6targetE1EEEvT1_,comdat
	.protected	_ZN7rocprim17ROCPRIM_400000_NS6detail17trampoline_kernelINS0_14default_configENS1_20scan_config_selectorIfEEZZNS1_9scan_implILNS1_25lookback_scan_determinismE0ELb1ELb1ES3_N6thrust23THRUST_200600_302600_NS6detail15normal_iteratorINS9_10device_ptrIKfEEEENSB_INSC_IfEEEEfNS9_4plusIvEEfEEDaPvRmT3_T4_T5_mT6_P12ihipStream_tbENKUlT_T0_E_clISt17integral_constantIbLb0EESX_EEDaSS_ST_EUlSS_E_NS1_11comp_targetILNS1_3genE9ELNS1_11target_archE1100ELNS1_3gpuE3ELNS1_3repE0EEENS1_30default_config_static_selectorELNS0_4arch9wavefront6targetE1EEEvT1_ ; -- Begin function _ZN7rocprim17ROCPRIM_400000_NS6detail17trampoline_kernelINS0_14default_configENS1_20scan_config_selectorIfEEZZNS1_9scan_implILNS1_25lookback_scan_determinismE0ELb1ELb1ES3_N6thrust23THRUST_200600_302600_NS6detail15normal_iteratorINS9_10device_ptrIKfEEEENSB_INSC_IfEEEEfNS9_4plusIvEEfEEDaPvRmT3_T4_T5_mT6_P12ihipStream_tbENKUlT_T0_E_clISt17integral_constantIbLb0EESX_EEDaSS_ST_EUlSS_E_NS1_11comp_targetILNS1_3genE9ELNS1_11target_archE1100ELNS1_3gpuE3ELNS1_3repE0EEENS1_30default_config_static_selectorELNS0_4arch9wavefront6targetE1EEEvT1_
	.globl	_ZN7rocprim17ROCPRIM_400000_NS6detail17trampoline_kernelINS0_14default_configENS1_20scan_config_selectorIfEEZZNS1_9scan_implILNS1_25lookback_scan_determinismE0ELb1ELb1ES3_N6thrust23THRUST_200600_302600_NS6detail15normal_iteratorINS9_10device_ptrIKfEEEENSB_INSC_IfEEEEfNS9_4plusIvEEfEEDaPvRmT3_T4_T5_mT6_P12ihipStream_tbENKUlT_T0_E_clISt17integral_constantIbLb0EESX_EEDaSS_ST_EUlSS_E_NS1_11comp_targetILNS1_3genE9ELNS1_11target_archE1100ELNS1_3gpuE3ELNS1_3repE0EEENS1_30default_config_static_selectorELNS0_4arch9wavefront6targetE1EEEvT1_
	.p2align	8
	.type	_ZN7rocprim17ROCPRIM_400000_NS6detail17trampoline_kernelINS0_14default_configENS1_20scan_config_selectorIfEEZZNS1_9scan_implILNS1_25lookback_scan_determinismE0ELb1ELb1ES3_N6thrust23THRUST_200600_302600_NS6detail15normal_iteratorINS9_10device_ptrIKfEEEENSB_INSC_IfEEEEfNS9_4plusIvEEfEEDaPvRmT3_T4_T5_mT6_P12ihipStream_tbENKUlT_T0_E_clISt17integral_constantIbLb0EESX_EEDaSS_ST_EUlSS_E_NS1_11comp_targetILNS1_3genE9ELNS1_11target_archE1100ELNS1_3gpuE3ELNS1_3repE0EEENS1_30default_config_static_selectorELNS0_4arch9wavefront6targetE1EEEvT1_,@function
_ZN7rocprim17ROCPRIM_400000_NS6detail17trampoline_kernelINS0_14default_configENS1_20scan_config_selectorIfEEZZNS1_9scan_implILNS1_25lookback_scan_determinismE0ELb1ELb1ES3_N6thrust23THRUST_200600_302600_NS6detail15normal_iteratorINS9_10device_ptrIKfEEEENSB_INSC_IfEEEEfNS9_4plusIvEEfEEDaPvRmT3_T4_T5_mT6_P12ihipStream_tbENKUlT_T0_E_clISt17integral_constantIbLb0EESX_EEDaSS_ST_EUlSS_E_NS1_11comp_targetILNS1_3genE9ELNS1_11target_archE1100ELNS1_3gpuE3ELNS1_3repE0EEENS1_30default_config_static_selectorELNS0_4arch9wavefront6targetE1EEEvT1_: ; @_ZN7rocprim17ROCPRIM_400000_NS6detail17trampoline_kernelINS0_14default_configENS1_20scan_config_selectorIfEEZZNS1_9scan_implILNS1_25lookback_scan_determinismE0ELb1ELb1ES3_N6thrust23THRUST_200600_302600_NS6detail15normal_iteratorINS9_10device_ptrIKfEEEENSB_INSC_IfEEEEfNS9_4plusIvEEfEEDaPvRmT3_T4_T5_mT6_P12ihipStream_tbENKUlT_T0_E_clISt17integral_constantIbLb0EESX_EEDaSS_ST_EUlSS_E_NS1_11comp_targetILNS1_3genE9ELNS1_11target_archE1100ELNS1_3gpuE3ELNS1_3repE0EEENS1_30default_config_static_selectorELNS0_4arch9wavefront6targetE1EEEvT1_
; %bb.0:
	.section	.rodata,"a",@progbits
	.p2align	6, 0x0
	.amdhsa_kernel _ZN7rocprim17ROCPRIM_400000_NS6detail17trampoline_kernelINS0_14default_configENS1_20scan_config_selectorIfEEZZNS1_9scan_implILNS1_25lookback_scan_determinismE0ELb1ELb1ES3_N6thrust23THRUST_200600_302600_NS6detail15normal_iteratorINS9_10device_ptrIKfEEEENSB_INSC_IfEEEEfNS9_4plusIvEEfEEDaPvRmT3_T4_T5_mT6_P12ihipStream_tbENKUlT_T0_E_clISt17integral_constantIbLb0EESX_EEDaSS_ST_EUlSS_E_NS1_11comp_targetILNS1_3genE9ELNS1_11target_archE1100ELNS1_3gpuE3ELNS1_3repE0EEENS1_30default_config_static_selectorELNS0_4arch9wavefront6targetE1EEEvT1_
		.amdhsa_group_segment_fixed_size 0
		.amdhsa_private_segment_fixed_size 0
		.amdhsa_kernarg_size 96
		.amdhsa_user_sgpr_count 2
		.amdhsa_user_sgpr_dispatch_ptr 0
		.amdhsa_user_sgpr_queue_ptr 0
		.amdhsa_user_sgpr_kernarg_segment_ptr 1
		.amdhsa_user_sgpr_dispatch_id 0
		.amdhsa_user_sgpr_kernarg_preload_length 0
		.amdhsa_user_sgpr_kernarg_preload_offset 0
		.amdhsa_user_sgpr_private_segment_size 0
		.amdhsa_uses_dynamic_stack 0
		.amdhsa_enable_private_segment 0
		.amdhsa_system_sgpr_workgroup_id_x 1
		.amdhsa_system_sgpr_workgroup_id_y 0
		.amdhsa_system_sgpr_workgroup_id_z 0
		.amdhsa_system_sgpr_workgroup_info 0
		.amdhsa_system_vgpr_workitem_id 0
		.amdhsa_next_free_vgpr 1
		.amdhsa_next_free_sgpr 0
		.amdhsa_accum_offset 4
		.amdhsa_reserve_vcc 0
		.amdhsa_float_round_mode_32 0
		.amdhsa_float_round_mode_16_64 0
		.amdhsa_float_denorm_mode_32 3
		.amdhsa_float_denorm_mode_16_64 3
		.amdhsa_dx10_clamp 1
		.amdhsa_ieee_mode 1
		.amdhsa_fp16_overflow 0
		.amdhsa_tg_split 0
		.amdhsa_exception_fp_ieee_invalid_op 0
		.amdhsa_exception_fp_denorm_src 0
		.amdhsa_exception_fp_ieee_div_zero 0
		.amdhsa_exception_fp_ieee_overflow 0
		.amdhsa_exception_fp_ieee_underflow 0
		.amdhsa_exception_fp_ieee_inexact 0
		.amdhsa_exception_int_div_zero 0
	.end_amdhsa_kernel
	.section	.text._ZN7rocprim17ROCPRIM_400000_NS6detail17trampoline_kernelINS0_14default_configENS1_20scan_config_selectorIfEEZZNS1_9scan_implILNS1_25lookback_scan_determinismE0ELb1ELb1ES3_N6thrust23THRUST_200600_302600_NS6detail15normal_iteratorINS9_10device_ptrIKfEEEENSB_INSC_IfEEEEfNS9_4plusIvEEfEEDaPvRmT3_T4_T5_mT6_P12ihipStream_tbENKUlT_T0_E_clISt17integral_constantIbLb0EESX_EEDaSS_ST_EUlSS_E_NS1_11comp_targetILNS1_3genE9ELNS1_11target_archE1100ELNS1_3gpuE3ELNS1_3repE0EEENS1_30default_config_static_selectorELNS0_4arch9wavefront6targetE1EEEvT1_,"axG",@progbits,_ZN7rocprim17ROCPRIM_400000_NS6detail17trampoline_kernelINS0_14default_configENS1_20scan_config_selectorIfEEZZNS1_9scan_implILNS1_25lookback_scan_determinismE0ELb1ELb1ES3_N6thrust23THRUST_200600_302600_NS6detail15normal_iteratorINS9_10device_ptrIKfEEEENSB_INSC_IfEEEEfNS9_4plusIvEEfEEDaPvRmT3_T4_T5_mT6_P12ihipStream_tbENKUlT_T0_E_clISt17integral_constantIbLb0EESX_EEDaSS_ST_EUlSS_E_NS1_11comp_targetILNS1_3genE9ELNS1_11target_archE1100ELNS1_3gpuE3ELNS1_3repE0EEENS1_30default_config_static_selectorELNS0_4arch9wavefront6targetE1EEEvT1_,comdat
.Lfunc_end9:
	.size	_ZN7rocprim17ROCPRIM_400000_NS6detail17trampoline_kernelINS0_14default_configENS1_20scan_config_selectorIfEEZZNS1_9scan_implILNS1_25lookback_scan_determinismE0ELb1ELb1ES3_N6thrust23THRUST_200600_302600_NS6detail15normal_iteratorINS9_10device_ptrIKfEEEENSB_INSC_IfEEEEfNS9_4plusIvEEfEEDaPvRmT3_T4_T5_mT6_P12ihipStream_tbENKUlT_T0_E_clISt17integral_constantIbLb0EESX_EEDaSS_ST_EUlSS_E_NS1_11comp_targetILNS1_3genE9ELNS1_11target_archE1100ELNS1_3gpuE3ELNS1_3repE0EEENS1_30default_config_static_selectorELNS0_4arch9wavefront6targetE1EEEvT1_, .Lfunc_end9-_ZN7rocprim17ROCPRIM_400000_NS6detail17trampoline_kernelINS0_14default_configENS1_20scan_config_selectorIfEEZZNS1_9scan_implILNS1_25lookback_scan_determinismE0ELb1ELb1ES3_N6thrust23THRUST_200600_302600_NS6detail15normal_iteratorINS9_10device_ptrIKfEEEENSB_INSC_IfEEEEfNS9_4plusIvEEfEEDaPvRmT3_T4_T5_mT6_P12ihipStream_tbENKUlT_T0_E_clISt17integral_constantIbLb0EESX_EEDaSS_ST_EUlSS_E_NS1_11comp_targetILNS1_3genE9ELNS1_11target_archE1100ELNS1_3gpuE3ELNS1_3repE0EEENS1_30default_config_static_selectorELNS0_4arch9wavefront6targetE1EEEvT1_
                                        ; -- End function
	.section	.AMDGPU.csdata,"",@progbits
; Kernel info:
; codeLenInByte = 0
; NumSgprs: 6
; NumVgprs: 0
; NumAgprs: 0
; TotalNumVgprs: 0
; ScratchSize: 0
; MemoryBound: 0
; FloatMode: 240
; IeeeMode: 1
; LDSByteSize: 0 bytes/workgroup (compile time only)
; SGPRBlocks: 0
; VGPRBlocks: 0
; NumSGPRsForWavesPerEU: 6
; NumVGPRsForWavesPerEU: 1
; AccumOffset: 4
; Occupancy: 8
; WaveLimiterHint : 0
; COMPUTE_PGM_RSRC2:SCRATCH_EN: 0
; COMPUTE_PGM_RSRC2:USER_SGPR: 2
; COMPUTE_PGM_RSRC2:TRAP_HANDLER: 0
; COMPUTE_PGM_RSRC2:TGID_X_EN: 1
; COMPUTE_PGM_RSRC2:TGID_Y_EN: 0
; COMPUTE_PGM_RSRC2:TGID_Z_EN: 0
; COMPUTE_PGM_RSRC2:TIDIG_COMP_CNT: 0
; COMPUTE_PGM_RSRC3_GFX90A:ACCUM_OFFSET: 0
; COMPUTE_PGM_RSRC3_GFX90A:TG_SPLIT: 0
	.section	.text._ZN7rocprim17ROCPRIM_400000_NS6detail17trampoline_kernelINS0_14default_configENS1_20scan_config_selectorIfEEZZNS1_9scan_implILNS1_25lookback_scan_determinismE0ELb1ELb1ES3_N6thrust23THRUST_200600_302600_NS6detail15normal_iteratorINS9_10device_ptrIKfEEEENSB_INSC_IfEEEEfNS9_4plusIvEEfEEDaPvRmT3_T4_T5_mT6_P12ihipStream_tbENKUlT_T0_E_clISt17integral_constantIbLb0EESX_EEDaSS_ST_EUlSS_E_NS1_11comp_targetILNS1_3genE8ELNS1_11target_archE1030ELNS1_3gpuE2ELNS1_3repE0EEENS1_30default_config_static_selectorELNS0_4arch9wavefront6targetE1EEEvT1_,"axG",@progbits,_ZN7rocprim17ROCPRIM_400000_NS6detail17trampoline_kernelINS0_14default_configENS1_20scan_config_selectorIfEEZZNS1_9scan_implILNS1_25lookback_scan_determinismE0ELb1ELb1ES3_N6thrust23THRUST_200600_302600_NS6detail15normal_iteratorINS9_10device_ptrIKfEEEENSB_INSC_IfEEEEfNS9_4plusIvEEfEEDaPvRmT3_T4_T5_mT6_P12ihipStream_tbENKUlT_T0_E_clISt17integral_constantIbLb0EESX_EEDaSS_ST_EUlSS_E_NS1_11comp_targetILNS1_3genE8ELNS1_11target_archE1030ELNS1_3gpuE2ELNS1_3repE0EEENS1_30default_config_static_selectorELNS0_4arch9wavefront6targetE1EEEvT1_,comdat
	.protected	_ZN7rocprim17ROCPRIM_400000_NS6detail17trampoline_kernelINS0_14default_configENS1_20scan_config_selectorIfEEZZNS1_9scan_implILNS1_25lookback_scan_determinismE0ELb1ELb1ES3_N6thrust23THRUST_200600_302600_NS6detail15normal_iteratorINS9_10device_ptrIKfEEEENSB_INSC_IfEEEEfNS9_4plusIvEEfEEDaPvRmT3_T4_T5_mT6_P12ihipStream_tbENKUlT_T0_E_clISt17integral_constantIbLb0EESX_EEDaSS_ST_EUlSS_E_NS1_11comp_targetILNS1_3genE8ELNS1_11target_archE1030ELNS1_3gpuE2ELNS1_3repE0EEENS1_30default_config_static_selectorELNS0_4arch9wavefront6targetE1EEEvT1_ ; -- Begin function _ZN7rocprim17ROCPRIM_400000_NS6detail17trampoline_kernelINS0_14default_configENS1_20scan_config_selectorIfEEZZNS1_9scan_implILNS1_25lookback_scan_determinismE0ELb1ELb1ES3_N6thrust23THRUST_200600_302600_NS6detail15normal_iteratorINS9_10device_ptrIKfEEEENSB_INSC_IfEEEEfNS9_4plusIvEEfEEDaPvRmT3_T4_T5_mT6_P12ihipStream_tbENKUlT_T0_E_clISt17integral_constantIbLb0EESX_EEDaSS_ST_EUlSS_E_NS1_11comp_targetILNS1_3genE8ELNS1_11target_archE1030ELNS1_3gpuE2ELNS1_3repE0EEENS1_30default_config_static_selectorELNS0_4arch9wavefront6targetE1EEEvT1_
	.globl	_ZN7rocprim17ROCPRIM_400000_NS6detail17trampoline_kernelINS0_14default_configENS1_20scan_config_selectorIfEEZZNS1_9scan_implILNS1_25lookback_scan_determinismE0ELb1ELb1ES3_N6thrust23THRUST_200600_302600_NS6detail15normal_iteratorINS9_10device_ptrIKfEEEENSB_INSC_IfEEEEfNS9_4plusIvEEfEEDaPvRmT3_T4_T5_mT6_P12ihipStream_tbENKUlT_T0_E_clISt17integral_constantIbLb0EESX_EEDaSS_ST_EUlSS_E_NS1_11comp_targetILNS1_3genE8ELNS1_11target_archE1030ELNS1_3gpuE2ELNS1_3repE0EEENS1_30default_config_static_selectorELNS0_4arch9wavefront6targetE1EEEvT1_
	.p2align	8
	.type	_ZN7rocprim17ROCPRIM_400000_NS6detail17trampoline_kernelINS0_14default_configENS1_20scan_config_selectorIfEEZZNS1_9scan_implILNS1_25lookback_scan_determinismE0ELb1ELb1ES3_N6thrust23THRUST_200600_302600_NS6detail15normal_iteratorINS9_10device_ptrIKfEEEENSB_INSC_IfEEEEfNS9_4plusIvEEfEEDaPvRmT3_T4_T5_mT6_P12ihipStream_tbENKUlT_T0_E_clISt17integral_constantIbLb0EESX_EEDaSS_ST_EUlSS_E_NS1_11comp_targetILNS1_3genE8ELNS1_11target_archE1030ELNS1_3gpuE2ELNS1_3repE0EEENS1_30default_config_static_selectorELNS0_4arch9wavefront6targetE1EEEvT1_,@function
_ZN7rocprim17ROCPRIM_400000_NS6detail17trampoline_kernelINS0_14default_configENS1_20scan_config_selectorIfEEZZNS1_9scan_implILNS1_25lookback_scan_determinismE0ELb1ELb1ES3_N6thrust23THRUST_200600_302600_NS6detail15normal_iteratorINS9_10device_ptrIKfEEEENSB_INSC_IfEEEEfNS9_4plusIvEEfEEDaPvRmT3_T4_T5_mT6_P12ihipStream_tbENKUlT_T0_E_clISt17integral_constantIbLb0EESX_EEDaSS_ST_EUlSS_E_NS1_11comp_targetILNS1_3genE8ELNS1_11target_archE1030ELNS1_3gpuE2ELNS1_3repE0EEENS1_30default_config_static_selectorELNS0_4arch9wavefront6targetE1EEEvT1_: ; @_ZN7rocprim17ROCPRIM_400000_NS6detail17trampoline_kernelINS0_14default_configENS1_20scan_config_selectorIfEEZZNS1_9scan_implILNS1_25lookback_scan_determinismE0ELb1ELb1ES3_N6thrust23THRUST_200600_302600_NS6detail15normal_iteratorINS9_10device_ptrIKfEEEENSB_INSC_IfEEEEfNS9_4plusIvEEfEEDaPvRmT3_T4_T5_mT6_P12ihipStream_tbENKUlT_T0_E_clISt17integral_constantIbLb0EESX_EEDaSS_ST_EUlSS_E_NS1_11comp_targetILNS1_3genE8ELNS1_11target_archE1030ELNS1_3gpuE2ELNS1_3repE0EEENS1_30default_config_static_selectorELNS0_4arch9wavefront6targetE1EEEvT1_
; %bb.0:
	.section	.rodata,"a",@progbits
	.p2align	6, 0x0
	.amdhsa_kernel _ZN7rocprim17ROCPRIM_400000_NS6detail17trampoline_kernelINS0_14default_configENS1_20scan_config_selectorIfEEZZNS1_9scan_implILNS1_25lookback_scan_determinismE0ELb1ELb1ES3_N6thrust23THRUST_200600_302600_NS6detail15normal_iteratorINS9_10device_ptrIKfEEEENSB_INSC_IfEEEEfNS9_4plusIvEEfEEDaPvRmT3_T4_T5_mT6_P12ihipStream_tbENKUlT_T0_E_clISt17integral_constantIbLb0EESX_EEDaSS_ST_EUlSS_E_NS1_11comp_targetILNS1_3genE8ELNS1_11target_archE1030ELNS1_3gpuE2ELNS1_3repE0EEENS1_30default_config_static_selectorELNS0_4arch9wavefront6targetE1EEEvT1_
		.amdhsa_group_segment_fixed_size 0
		.amdhsa_private_segment_fixed_size 0
		.amdhsa_kernarg_size 96
		.amdhsa_user_sgpr_count 2
		.amdhsa_user_sgpr_dispatch_ptr 0
		.amdhsa_user_sgpr_queue_ptr 0
		.amdhsa_user_sgpr_kernarg_segment_ptr 1
		.amdhsa_user_sgpr_dispatch_id 0
		.amdhsa_user_sgpr_kernarg_preload_length 0
		.amdhsa_user_sgpr_kernarg_preload_offset 0
		.amdhsa_user_sgpr_private_segment_size 0
		.amdhsa_uses_dynamic_stack 0
		.amdhsa_enable_private_segment 0
		.amdhsa_system_sgpr_workgroup_id_x 1
		.amdhsa_system_sgpr_workgroup_id_y 0
		.amdhsa_system_sgpr_workgroup_id_z 0
		.amdhsa_system_sgpr_workgroup_info 0
		.amdhsa_system_vgpr_workitem_id 0
		.amdhsa_next_free_vgpr 1
		.amdhsa_next_free_sgpr 0
		.amdhsa_accum_offset 4
		.amdhsa_reserve_vcc 0
		.amdhsa_float_round_mode_32 0
		.amdhsa_float_round_mode_16_64 0
		.amdhsa_float_denorm_mode_32 3
		.amdhsa_float_denorm_mode_16_64 3
		.amdhsa_dx10_clamp 1
		.amdhsa_ieee_mode 1
		.amdhsa_fp16_overflow 0
		.amdhsa_tg_split 0
		.amdhsa_exception_fp_ieee_invalid_op 0
		.amdhsa_exception_fp_denorm_src 0
		.amdhsa_exception_fp_ieee_div_zero 0
		.amdhsa_exception_fp_ieee_overflow 0
		.amdhsa_exception_fp_ieee_underflow 0
		.amdhsa_exception_fp_ieee_inexact 0
		.amdhsa_exception_int_div_zero 0
	.end_amdhsa_kernel
	.section	.text._ZN7rocprim17ROCPRIM_400000_NS6detail17trampoline_kernelINS0_14default_configENS1_20scan_config_selectorIfEEZZNS1_9scan_implILNS1_25lookback_scan_determinismE0ELb1ELb1ES3_N6thrust23THRUST_200600_302600_NS6detail15normal_iteratorINS9_10device_ptrIKfEEEENSB_INSC_IfEEEEfNS9_4plusIvEEfEEDaPvRmT3_T4_T5_mT6_P12ihipStream_tbENKUlT_T0_E_clISt17integral_constantIbLb0EESX_EEDaSS_ST_EUlSS_E_NS1_11comp_targetILNS1_3genE8ELNS1_11target_archE1030ELNS1_3gpuE2ELNS1_3repE0EEENS1_30default_config_static_selectorELNS0_4arch9wavefront6targetE1EEEvT1_,"axG",@progbits,_ZN7rocprim17ROCPRIM_400000_NS6detail17trampoline_kernelINS0_14default_configENS1_20scan_config_selectorIfEEZZNS1_9scan_implILNS1_25lookback_scan_determinismE0ELb1ELb1ES3_N6thrust23THRUST_200600_302600_NS6detail15normal_iteratorINS9_10device_ptrIKfEEEENSB_INSC_IfEEEEfNS9_4plusIvEEfEEDaPvRmT3_T4_T5_mT6_P12ihipStream_tbENKUlT_T0_E_clISt17integral_constantIbLb0EESX_EEDaSS_ST_EUlSS_E_NS1_11comp_targetILNS1_3genE8ELNS1_11target_archE1030ELNS1_3gpuE2ELNS1_3repE0EEENS1_30default_config_static_selectorELNS0_4arch9wavefront6targetE1EEEvT1_,comdat
.Lfunc_end10:
	.size	_ZN7rocprim17ROCPRIM_400000_NS6detail17trampoline_kernelINS0_14default_configENS1_20scan_config_selectorIfEEZZNS1_9scan_implILNS1_25lookback_scan_determinismE0ELb1ELb1ES3_N6thrust23THRUST_200600_302600_NS6detail15normal_iteratorINS9_10device_ptrIKfEEEENSB_INSC_IfEEEEfNS9_4plusIvEEfEEDaPvRmT3_T4_T5_mT6_P12ihipStream_tbENKUlT_T0_E_clISt17integral_constantIbLb0EESX_EEDaSS_ST_EUlSS_E_NS1_11comp_targetILNS1_3genE8ELNS1_11target_archE1030ELNS1_3gpuE2ELNS1_3repE0EEENS1_30default_config_static_selectorELNS0_4arch9wavefront6targetE1EEEvT1_, .Lfunc_end10-_ZN7rocprim17ROCPRIM_400000_NS6detail17trampoline_kernelINS0_14default_configENS1_20scan_config_selectorIfEEZZNS1_9scan_implILNS1_25lookback_scan_determinismE0ELb1ELb1ES3_N6thrust23THRUST_200600_302600_NS6detail15normal_iteratorINS9_10device_ptrIKfEEEENSB_INSC_IfEEEEfNS9_4plusIvEEfEEDaPvRmT3_T4_T5_mT6_P12ihipStream_tbENKUlT_T0_E_clISt17integral_constantIbLb0EESX_EEDaSS_ST_EUlSS_E_NS1_11comp_targetILNS1_3genE8ELNS1_11target_archE1030ELNS1_3gpuE2ELNS1_3repE0EEENS1_30default_config_static_selectorELNS0_4arch9wavefront6targetE1EEEvT1_
                                        ; -- End function
	.section	.AMDGPU.csdata,"",@progbits
; Kernel info:
; codeLenInByte = 0
; NumSgprs: 6
; NumVgprs: 0
; NumAgprs: 0
; TotalNumVgprs: 0
; ScratchSize: 0
; MemoryBound: 0
; FloatMode: 240
; IeeeMode: 1
; LDSByteSize: 0 bytes/workgroup (compile time only)
; SGPRBlocks: 0
; VGPRBlocks: 0
; NumSGPRsForWavesPerEU: 6
; NumVGPRsForWavesPerEU: 1
; AccumOffset: 4
; Occupancy: 8
; WaveLimiterHint : 0
; COMPUTE_PGM_RSRC2:SCRATCH_EN: 0
; COMPUTE_PGM_RSRC2:USER_SGPR: 2
; COMPUTE_PGM_RSRC2:TRAP_HANDLER: 0
; COMPUTE_PGM_RSRC2:TGID_X_EN: 1
; COMPUTE_PGM_RSRC2:TGID_Y_EN: 0
; COMPUTE_PGM_RSRC2:TGID_Z_EN: 0
; COMPUTE_PGM_RSRC2:TIDIG_COMP_CNT: 0
; COMPUTE_PGM_RSRC3_GFX90A:ACCUM_OFFSET: 0
; COMPUTE_PGM_RSRC3_GFX90A:TG_SPLIT: 0
	.section	.text._ZN7rocprim17ROCPRIM_400000_NS6detail17trampoline_kernelINS0_14default_configENS1_25transform_config_selectorIfLb1EEEZNS1_14transform_implILb1ES3_S5_PfS7_NS0_8identityIfEEEE10hipError_tT2_T3_mT4_P12ihipStream_tbEUlT_E_NS1_11comp_targetILNS1_3genE0ELNS1_11target_archE4294967295ELNS1_3gpuE0ELNS1_3repE0EEENS1_30default_config_static_selectorELNS0_4arch9wavefront6targetE1EEEvT1_,"axG",@progbits,_ZN7rocprim17ROCPRIM_400000_NS6detail17trampoline_kernelINS0_14default_configENS1_25transform_config_selectorIfLb1EEEZNS1_14transform_implILb1ES3_S5_PfS7_NS0_8identityIfEEEE10hipError_tT2_T3_mT4_P12ihipStream_tbEUlT_E_NS1_11comp_targetILNS1_3genE0ELNS1_11target_archE4294967295ELNS1_3gpuE0ELNS1_3repE0EEENS1_30default_config_static_selectorELNS0_4arch9wavefront6targetE1EEEvT1_,comdat
	.protected	_ZN7rocprim17ROCPRIM_400000_NS6detail17trampoline_kernelINS0_14default_configENS1_25transform_config_selectorIfLb1EEEZNS1_14transform_implILb1ES3_S5_PfS7_NS0_8identityIfEEEE10hipError_tT2_T3_mT4_P12ihipStream_tbEUlT_E_NS1_11comp_targetILNS1_3genE0ELNS1_11target_archE4294967295ELNS1_3gpuE0ELNS1_3repE0EEENS1_30default_config_static_selectorELNS0_4arch9wavefront6targetE1EEEvT1_ ; -- Begin function _ZN7rocprim17ROCPRIM_400000_NS6detail17trampoline_kernelINS0_14default_configENS1_25transform_config_selectorIfLb1EEEZNS1_14transform_implILb1ES3_S5_PfS7_NS0_8identityIfEEEE10hipError_tT2_T3_mT4_P12ihipStream_tbEUlT_E_NS1_11comp_targetILNS1_3genE0ELNS1_11target_archE4294967295ELNS1_3gpuE0ELNS1_3repE0EEENS1_30default_config_static_selectorELNS0_4arch9wavefront6targetE1EEEvT1_
	.globl	_ZN7rocprim17ROCPRIM_400000_NS6detail17trampoline_kernelINS0_14default_configENS1_25transform_config_selectorIfLb1EEEZNS1_14transform_implILb1ES3_S5_PfS7_NS0_8identityIfEEEE10hipError_tT2_T3_mT4_P12ihipStream_tbEUlT_E_NS1_11comp_targetILNS1_3genE0ELNS1_11target_archE4294967295ELNS1_3gpuE0ELNS1_3repE0EEENS1_30default_config_static_selectorELNS0_4arch9wavefront6targetE1EEEvT1_
	.p2align	8
	.type	_ZN7rocprim17ROCPRIM_400000_NS6detail17trampoline_kernelINS0_14default_configENS1_25transform_config_selectorIfLb1EEEZNS1_14transform_implILb1ES3_S5_PfS7_NS0_8identityIfEEEE10hipError_tT2_T3_mT4_P12ihipStream_tbEUlT_E_NS1_11comp_targetILNS1_3genE0ELNS1_11target_archE4294967295ELNS1_3gpuE0ELNS1_3repE0EEENS1_30default_config_static_selectorELNS0_4arch9wavefront6targetE1EEEvT1_,@function
_ZN7rocprim17ROCPRIM_400000_NS6detail17trampoline_kernelINS0_14default_configENS1_25transform_config_selectorIfLb1EEEZNS1_14transform_implILb1ES3_S5_PfS7_NS0_8identityIfEEEE10hipError_tT2_T3_mT4_P12ihipStream_tbEUlT_E_NS1_11comp_targetILNS1_3genE0ELNS1_11target_archE4294967295ELNS1_3gpuE0ELNS1_3repE0EEENS1_30default_config_static_selectorELNS0_4arch9wavefront6targetE1EEEvT1_: ; @_ZN7rocprim17ROCPRIM_400000_NS6detail17trampoline_kernelINS0_14default_configENS1_25transform_config_selectorIfLb1EEEZNS1_14transform_implILb1ES3_S5_PfS7_NS0_8identityIfEEEE10hipError_tT2_T3_mT4_P12ihipStream_tbEUlT_E_NS1_11comp_targetILNS1_3genE0ELNS1_11target_archE4294967295ELNS1_3gpuE0ELNS1_3repE0EEENS1_30default_config_static_selectorELNS0_4arch9wavefront6targetE1EEEvT1_
; %bb.0:
	.section	.rodata,"a",@progbits
	.p2align	6, 0x0
	.amdhsa_kernel _ZN7rocprim17ROCPRIM_400000_NS6detail17trampoline_kernelINS0_14default_configENS1_25transform_config_selectorIfLb1EEEZNS1_14transform_implILb1ES3_S5_PfS7_NS0_8identityIfEEEE10hipError_tT2_T3_mT4_P12ihipStream_tbEUlT_E_NS1_11comp_targetILNS1_3genE0ELNS1_11target_archE4294967295ELNS1_3gpuE0ELNS1_3repE0EEENS1_30default_config_static_selectorELNS0_4arch9wavefront6targetE1EEEvT1_
		.amdhsa_group_segment_fixed_size 0
		.amdhsa_private_segment_fixed_size 0
		.amdhsa_kernarg_size 40
		.amdhsa_user_sgpr_count 2
		.amdhsa_user_sgpr_dispatch_ptr 0
		.amdhsa_user_sgpr_queue_ptr 0
		.amdhsa_user_sgpr_kernarg_segment_ptr 1
		.amdhsa_user_sgpr_dispatch_id 0
		.amdhsa_user_sgpr_kernarg_preload_length 0
		.amdhsa_user_sgpr_kernarg_preload_offset 0
		.amdhsa_user_sgpr_private_segment_size 0
		.amdhsa_uses_dynamic_stack 0
		.amdhsa_enable_private_segment 0
		.amdhsa_system_sgpr_workgroup_id_x 1
		.amdhsa_system_sgpr_workgroup_id_y 0
		.amdhsa_system_sgpr_workgroup_id_z 0
		.amdhsa_system_sgpr_workgroup_info 0
		.amdhsa_system_vgpr_workitem_id 0
		.amdhsa_next_free_vgpr 1
		.amdhsa_next_free_sgpr 0
		.amdhsa_accum_offset 4
		.amdhsa_reserve_vcc 0
		.amdhsa_float_round_mode_32 0
		.amdhsa_float_round_mode_16_64 0
		.amdhsa_float_denorm_mode_32 3
		.amdhsa_float_denorm_mode_16_64 3
		.amdhsa_dx10_clamp 1
		.amdhsa_ieee_mode 1
		.amdhsa_fp16_overflow 0
		.amdhsa_tg_split 0
		.amdhsa_exception_fp_ieee_invalid_op 0
		.amdhsa_exception_fp_denorm_src 0
		.amdhsa_exception_fp_ieee_div_zero 0
		.amdhsa_exception_fp_ieee_overflow 0
		.amdhsa_exception_fp_ieee_underflow 0
		.amdhsa_exception_fp_ieee_inexact 0
		.amdhsa_exception_int_div_zero 0
	.end_amdhsa_kernel
	.section	.text._ZN7rocprim17ROCPRIM_400000_NS6detail17trampoline_kernelINS0_14default_configENS1_25transform_config_selectorIfLb1EEEZNS1_14transform_implILb1ES3_S5_PfS7_NS0_8identityIfEEEE10hipError_tT2_T3_mT4_P12ihipStream_tbEUlT_E_NS1_11comp_targetILNS1_3genE0ELNS1_11target_archE4294967295ELNS1_3gpuE0ELNS1_3repE0EEENS1_30default_config_static_selectorELNS0_4arch9wavefront6targetE1EEEvT1_,"axG",@progbits,_ZN7rocprim17ROCPRIM_400000_NS6detail17trampoline_kernelINS0_14default_configENS1_25transform_config_selectorIfLb1EEEZNS1_14transform_implILb1ES3_S5_PfS7_NS0_8identityIfEEEE10hipError_tT2_T3_mT4_P12ihipStream_tbEUlT_E_NS1_11comp_targetILNS1_3genE0ELNS1_11target_archE4294967295ELNS1_3gpuE0ELNS1_3repE0EEENS1_30default_config_static_selectorELNS0_4arch9wavefront6targetE1EEEvT1_,comdat
.Lfunc_end11:
	.size	_ZN7rocprim17ROCPRIM_400000_NS6detail17trampoline_kernelINS0_14default_configENS1_25transform_config_selectorIfLb1EEEZNS1_14transform_implILb1ES3_S5_PfS7_NS0_8identityIfEEEE10hipError_tT2_T3_mT4_P12ihipStream_tbEUlT_E_NS1_11comp_targetILNS1_3genE0ELNS1_11target_archE4294967295ELNS1_3gpuE0ELNS1_3repE0EEENS1_30default_config_static_selectorELNS0_4arch9wavefront6targetE1EEEvT1_, .Lfunc_end11-_ZN7rocprim17ROCPRIM_400000_NS6detail17trampoline_kernelINS0_14default_configENS1_25transform_config_selectorIfLb1EEEZNS1_14transform_implILb1ES3_S5_PfS7_NS0_8identityIfEEEE10hipError_tT2_T3_mT4_P12ihipStream_tbEUlT_E_NS1_11comp_targetILNS1_3genE0ELNS1_11target_archE4294967295ELNS1_3gpuE0ELNS1_3repE0EEENS1_30default_config_static_selectorELNS0_4arch9wavefront6targetE1EEEvT1_
                                        ; -- End function
	.section	.AMDGPU.csdata,"",@progbits
; Kernel info:
; codeLenInByte = 0
; NumSgprs: 6
; NumVgprs: 0
; NumAgprs: 0
; TotalNumVgprs: 0
; ScratchSize: 0
; MemoryBound: 0
; FloatMode: 240
; IeeeMode: 1
; LDSByteSize: 0 bytes/workgroup (compile time only)
; SGPRBlocks: 0
; VGPRBlocks: 0
; NumSGPRsForWavesPerEU: 6
; NumVGPRsForWavesPerEU: 1
; AccumOffset: 4
; Occupancy: 8
; WaveLimiterHint : 0
; COMPUTE_PGM_RSRC2:SCRATCH_EN: 0
; COMPUTE_PGM_RSRC2:USER_SGPR: 2
; COMPUTE_PGM_RSRC2:TRAP_HANDLER: 0
; COMPUTE_PGM_RSRC2:TGID_X_EN: 1
; COMPUTE_PGM_RSRC2:TGID_Y_EN: 0
; COMPUTE_PGM_RSRC2:TGID_Z_EN: 0
; COMPUTE_PGM_RSRC2:TIDIG_COMP_CNT: 0
; COMPUTE_PGM_RSRC3_GFX90A:ACCUM_OFFSET: 0
; COMPUTE_PGM_RSRC3_GFX90A:TG_SPLIT: 0
	.section	.text._ZN7rocprim17ROCPRIM_400000_NS6detail17trampoline_kernelINS0_14default_configENS1_25transform_config_selectorIfLb1EEEZNS1_14transform_implILb1ES3_S5_PfS7_NS0_8identityIfEEEE10hipError_tT2_T3_mT4_P12ihipStream_tbEUlT_E_NS1_11comp_targetILNS1_3genE10ELNS1_11target_archE1201ELNS1_3gpuE5ELNS1_3repE0EEENS1_30default_config_static_selectorELNS0_4arch9wavefront6targetE1EEEvT1_,"axG",@progbits,_ZN7rocprim17ROCPRIM_400000_NS6detail17trampoline_kernelINS0_14default_configENS1_25transform_config_selectorIfLb1EEEZNS1_14transform_implILb1ES3_S5_PfS7_NS0_8identityIfEEEE10hipError_tT2_T3_mT4_P12ihipStream_tbEUlT_E_NS1_11comp_targetILNS1_3genE10ELNS1_11target_archE1201ELNS1_3gpuE5ELNS1_3repE0EEENS1_30default_config_static_selectorELNS0_4arch9wavefront6targetE1EEEvT1_,comdat
	.protected	_ZN7rocprim17ROCPRIM_400000_NS6detail17trampoline_kernelINS0_14default_configENS1_25transform_config_selectorIfLb1EEEZNS1_14transform_implILb1ES3_S5_PfS7_NS0_8identityIfEEEE10hipError_tT2_T3_mT4_P12ihipStream_tbEUlT_E_NS1_11comp_targetILNS1_3genE10ELNS1_11target_archE1201ELNS1_3gpuE5ELNS1_3repE0EEENS1_30default_config_static_selectorELNS0_4arch9wavefront6targetE1EEEvT1_ ; -- Begin function _ZN7rocprim17ROCPRIM_400000_NS6detail17trampoline_kernelINS0_14default_configENS1_25transform_config_selectorIfLb1EEEZNS1_14transform_implILb1ES3_S5_PfS7_NS0_8identityIfEEEE10hipError_tT2_T3_mT4_P12ihipStream_tbEUlT_E_NS1_11comp_targetILNS1_3genE10ELNS1_11target_archE1201ELNS1_3gpuE5ELNS1_3repE0EEENS1_30default_config_static_selectorELNS0_4arch9wavefront6targetE1EEEvT1_
	.globl	_ZN7rocprim17ROCPRIM_400000_NS6detail17trampoline_kernelINS0_14default_configENS1_25transform_config_selectorIfLb1EEEZNS1_14transform_implILb1ES3_S5_PfS7_NS0_8identityIfEEEE10hipError_tT2_T3_mT4_P12ihipStream_tbEUlT_E_NS1_11comp_targetILNS1_3genE10ELNS1_11target_archE1201ELNS1_3gpuE5ELNS1_3repE0EEENS1_30default_config_static_selectorELNS0_4arch9wavefront6targetE1EEEvT1_
	.p2align	8
	.type	_ZN7rocprim17ROCPRIM_400000_NS6detail17trampoline_kernelINS0_14default_configENS1_25transform_config_selectorIfLb1EEEZNS1_14transform_implILb1ES3_S5_PfS7_NS0_8identityIfEEEE10hipError_tT2_T3_mT4_P12ihipStream_tbEUlT_E_NS1_11comp_targetILNS1_3genE10ELNS1_11target_archE1201ELNS1_3gpuE5ELNS1_3repE0EEENS1_30default_config_static_selectorELNS0_4arch9wavefront6targetE1EEEvT1_,@function
_ZN7rocprim17ROCPRIM_400000_NS6detail17trampoline_kernelINS0_14default_configENS1_25transform_config_selectorIfLb1EEEZNS1_14transform_implILb1ES3_S5_PfS7_NS0_8identityIfEEEE10hipError_tT2_T3_mT4_P12ihipStream_tbEUlT_E_NS1_11comp_targetILNS1_3genE10ELNS1_11target_archE1201ELNS1_3gpuE5ELNS1_3repE0EEENS1_30default_config_static_selectorELNS0_4arch9wavefront6targetE1EEEvT1_: ; @_ZN7rocprim17ROCPRIM_400000_NS6detail17trampoline_kernelINS0_14default_configENS1_25transform_config_selectorIfLb1EEEZNS1_14transform_implILb1ES3_S5_PfS7_NS0_8identityIfEEEE10hipError_tT2_T3_mT4_P12ihipStream_tbEUlT_E_NS1_11comp_targetILNS1_3genE10ELNS1_11target_archE1201ELNS1_3gpuE5ELNS1_3repE0EEENS1_30default_config_static_selectorELNS0_4arch9wavefront6targetE1EEEvT1_
; %bb.0:
	.section	.rodata,"a",@progbits
	.p2align	6, 0x0
	.amdhsa_kernel _ZN7rocprim17ROCPRIM_400000_NS6detail17trampoline_kernelINS0_14default_configENS1_25transform_config_selectorIfLb1EEEZNS1_14transform_implILb1ES3_S5_PfS7_NS0_8identityIfEEEE10hipError_tT2_T3_mT4_P12ihipStream_tbEUlT_E_NS1_11comp_targetILNS1_3genE10ELNS1_11target_archE1201ELNS1_3gpuE5ELNS1_3repE0EEENS1_30default_config_static_selectorELNS0_4arch9wavefront6targetE1EEEvT1_
		.amdhsa_group_segment_fixed_size 0
		.amdhsa_private_segment_fixed_size 0
		.amdhsa_kernarg_size 40
		.amdhsa_user_sgpr_count 2
		.amdhsa_user_sgpr_dispatch_ptr 0
		.amdhsa_user_sgpr_queue_ptr 0
		.amdhsa_user_sgpr_kernarg_segment_ptr 1
		.amdhsa_user_sgpr_dispatch_id 0
		.amdhsa_user_sgpr_kernarg_preload_length 0
		.amdhsa_user_sgpr_kernarg_preload_offset 0
		.amdhsa_user_sgpr_private_segment_size 0
		.amdhsa_uses_dynamic_stack 0
		.amdhsa_enable_private_segment 0
		.amdhsa_system_sgpr_workgroup_id_x 1
		.amdhsa_system_sgpr_workgroup_id_y 0
		.amdhsa_system_sgpr_workgroup_id_z 0
		.amdhsa_system_sgpr_workgroup_info 0
		.amdhsa_system_vgpr_workitem_id 0
		.amdhsa_next_free_vgpr 1
		.amdhsa_next_free_sgpr 0
		.amdhsa_accum_offset 4
		.amdhsa_reserve_vcc 0
		.amdhsa_float_round_mode_32 0
		.amdhsa_float_round_mode_16_64 0
		.amdhsa_float_denorm_mode_32 3
		.amdhsa_float_denorm_mode_16_64 3
		.amdhsa_dx10_clamp 1
		.amdhsa_ieee_mode 1
		.amdhsa_fp16_overflow 0
		.amdhsa_tg_split 0
		.amdhsa_exception_fp_ieee_invalid_op 0
		.amdhsa_exception_fp_denorm_src 0
		.amdhsa_exception_fp_ieee_div_zero 0
		.amdhsa_exception_fp_ieee_overflow 0
		.amdhsa_exception_fp_ieee_underflow 0
		.amdhsa_exception_fp_ieee_inexact 0
		.amdhsa_exception_int_div_zero 0
	.end_amdhsa_kernel
	.section	.text._ZN7rocprim17ROCPRIM_400000_NS6detail17trampoline_kernelINS0_14default_configENS1_25transform_config_selectorIfLb1EEEZNS1_14transform_implILb1ES3_S5_PfS7_NS0_8identityIfEEEE10hipError_tT2_T3_mT4_P12ihipStream_tbEUlT_E_NS1_11comp_targetILNS1_3genE10ELNS1_11target_archE1201ELNS1_3gpuE5ELNS1_3repE0EEENS1_30default_config_static_selectorELNS0_4arch9wavefront6targetE1EEEvT1_,"axG",@progbits,_ZN7rocprim17ROCPRIM_400000_NS6detail17trampoline_kernelINS0_14default_configENS1_25transform_config_selectorIfLb1EEEZNS1_14transform_implILb1ES3_S5_PfS7_NS0_8identityIfEEEE10hipError_tT2_T3_mT4_P12ihipStream_tbEUlT_E_NS1_11comp_targetILNS1_3genE10ELNS1_11target_archE1201ELNS1_3gpuE5ELNS1_3repE0EEENS1_30default_config_static_selectorELNS0_4arch9wavefront6targetE1EEEvT1_,comdat
.Lfunc_end12:
	.size	_ZN7rocprim17ROCPRIM_400000_NS6detail17trampoline_kernelINS0_14default_configENS1_25transform_config_selectorIfLb1EEEZNS1_14transform_implILb1ES3_S5_PfS7_NS0_8identityIfEEEE10hipError_tT2_T3_mT4_P12ihipStream_tbEUlT_E_NS1_11comp_targetILNS1_3genE10ELNS1_11target_archE1201ELNS1_3gpuE5ELNS1_3repE0EEENS1_30default_config_static_selectorELNS0_4arch9wavefront6targetE1EEEvT1_, .Lfunc_end12-_ZN7rocprim17ROCPRIM_400000_NS6detail17trampoline_kernelINS0_14default_configENS1_25transform_config_selectorIfLb1EEEZNS1_14transform_implILb1ES3_S5_PfS7_NS0_8identityIfEEEE10hipError_tT2_T3_mT4_P12ihipStream_tbEUlT_E_NS1_11comp_targetILNS1_3genE10ELNS1_11target_archE1201ELNS1_3gpuE5ELNS1_3repE0EEENS1_30default_config_static_selectorELNS0_4arch9wavefront6targetE1EEEvT1_
                                        ; -- End function
	.section	.AMDGPU.csdata,"",@progbits
; Kernel info:
; codeLenInByte = 0
; NumSgprs: 6
; NumVgprs: 0
; NumAgprs: 0
; TotalNumVgprs: 0
; ScratchSize: 0
; MemoryBound: 0
; FloatMode: 240
; IeeeMode: 1
; LDSByteSize: 0 bytes/workgroup (compile time only)
; SGPRBlocks: 0
; VGPRBlocks: 0
; NumSGPRsForWavesPerEU: 6
; NumVGPRsForWavesPerEU: 1
; AccumOffset: 4
; Occupancy: 8
; WaveLimiterHint : 0
; COMPUTE_PGM_RSRC2:SCRATCH_EN: 0
; COMPUTE_PGM_RSRC2:USER_SGPR: 2
; COMPUTE_PGM_RSRC2:TRAP_HANDLER: 0
; COMPUTE_PGM_RSRC2:TGID_X_EN: 1
; COMPUTE_PGM_RSRC2:TGID_Y_EN: 0
; COMPUTE_PGM_RSRC2:TGID_Z_EN: 0
; COMPUTE_PGM_RSRC2:TIDIG_COMP_CNT: 0
; COMPUTE_PGM_RSRC3_GFX90A:ACCUM_OFFSET: 0
; COMPUTE_PGM_RSRC3_GFX90A:TG_SPLIT: 0
	.section	.text._ZN7rocprim17ROCPRIM_400000_NS6detail17trampoline_kernelINS0_14default_configENS1_25transform_config_selectorIfLb1EEEZNS1_14transform_implILb1ES3_S5_PfS7_NS0_8identityIfEEEE10hipError_tT2_T3_mT4_P12ihipStream_tbEUlT_E_NS1_11comp_targetILNS1_3genE5ELNS1_11target_archE942ELNS1_3gpuE9ELNS1_3repE0EEENS1_30default_config_static_selectorELNS0_4arch9wavefront6targetE1EEEvT1_,"axG",@progbits,_ZN7rocprim17ROCPRIM_400000_NS6detail17trampoline_kernelINS0_14default_configENS1_25transform_config_selectorIfLb1EEEZNS1_14transform_implILb1ES3_S5_PfS7_NS0_8identityIfEEEE10hipError_tT2_T3_mT4_P12ihipStream_tbEUlT_E_NS1_11comp_targetILNS1_3genE5ELNS1_11target_archE942ELNS1_3gpuE9ELNS1_3repE0EEENS1_30default_config_static_selectorELNS0_4arch9wavefront6targetE1EEEvT1_,comdat
	.protected	_ZN7rocprim17ROCPRIM_400000_NS6detail17trampoline_kernelINS0_14default_configENS1_25transform_config_selectorIfLb1EEEZNS1_14transform_implILb1ES3_S5_PfS7_NS0_8identityIfEEEE10hipError_tT2_T3_mT4_P12ihipStream_tbEUlT_E_NS1_11comp_targetILNS1_3genE5ELNS1_11target_archE942ELNS1_3gpuE9ELNS1_3repE0EEENS1_30default_config_static_selectorELNS0_4arch9wavefront6targetE1EEEvT1_ ; -- Begin function _ZN7rocprim17ROCPRIM_400000_NS6detail17trampoline_kernelINS0_14default_configENS1_25transform_config_selectorIfLb1EEEZNS1_14transform_implILb1ES3_S5_PfS7_NS0_8identityIfEEEE10hipError_tT2_T3_mT4_P12ihipStream_tbEUlT_E_NS1_11comp_targetILNS1_3genE5ELNS1_11target_archE942ELNS1_3gpuE9ELNS1_3repE0EEENS1_30default_config_static_selectorELNS0_4arch9wavefront6targetE1EEEvT1_
	.globl	_ZN7rocprim17ROCPRIM_400000_NS6detail17trampoline_kernelINS0_14default_configENS1_25transform_config_selectorIfLb1EEEZNS1_14transform_implILb1ES3_S5_PfS7_NS0_8identityIfEEEE10hipError_tT2_T3_mT4_P12ihipStream_tbEUlT_E_NS1_11comp_targetILNS1_3genE5ELNS1_11target_archE942ELNS1_3gpuE9ELNS1_3repE0EEENS1_30default_config_static_selectorELNS0_4arch9wavefront6targetE1EEEvT1_
	.p2align	8
	.type	_ZN7rocprim17ROCPRIM_400000_NS6detail17trampoline_kernelINS0_14default_configENS1_25transform_config_selectorIfLb1EEEZNS1_14transform_implILb1ES3_S5_PfS7_NS0_8identityIfEEEE10hipError_tT2_T3_mT4_P12ihipStream_tbEUlT_E_NS1_11comp_targetILNS1_3genE5ELNS1_11target_archE942ELNS1_3gpuE9ELNS1_3repE0EEENS1_30default_config_static_selectorELNS0_4arch9wavefront6targetE1EEEvT1_,@function
_ZN7rocprim17ROCPRIM_400000_NS6detail17trampoline_kernelINS0_14default_configENS1_25transform_config_selectorIfLb1EEEZNS1_14transform_implILb1ES3_S5_PfS7_NS0_8identityIfEEEE10hipError_tT2_T3_mT4_P12ihipStream_tbEUlT_E_NS1_11comp_targetILNS1_3genE5ELNS1_11target_archE942ELNS1_3gpuE9ELNS1_3repE0EEENS1_30default_config_static_selectorELNS0_4arch9wavefront6targetE1EEEvT1_: ; @_ZN7rocprim17ROCPRIM_400000_NS6detail17trampoline_kernelINS0_14default_configENS1_25transform_config_selectorIfLb1EEEZNS1_14transform_implILb1ES3_S5_PfS7_NS0_8identityIfEEEE10hipError_tT2_T3_mT4_P12ihipStream_tbEUlT_E_NS1_11comp_targetILNS1_3genE5ELNS1_11target_archE942ELNS1_3gpuE9ELNS1_3repE0EEENS1_30default_config_static_selectorELNS0_4arch9wavefront6targetE1EEEvT1_
; %bb.0:
	s_load_dwordx8 s[4:11], s[0:1], 0x0
	s_load_dword s3, s[0:1], 0x28
	s_waitcnt lgkmcnt(0)
	s_lshl_b64 s[0:1], s[6:7], 2
	s_add_u32 s4, s4, s0
	s_addc_u32 s5, s5, s1
	s_add_u32 s9, s10, s0
	s_addc_u32 s14, s11, s1
	s_lshl_b32 s0, s2, 10
	s_mov_b32 s1, 0
	s_add_i32 s3, s3, -1
	s_lshl_b64 s[10:11], s[0:1], 2
	s_add_u32 s12, s4, s10
	s_addc_u32 s13, s5, s11
	s_cmp_lg_u32 s2, s3
	s_mov_b64 s[2:3], -1
	s_cbranch_scc0 .LBB13_2
; %bb.1:
	v_lshlrev_b32_e32 v1, 4, v0
	global_load_dwordx4 v[2:5], v1, s[12:13] nt
	s_add_u32 s2, s9, s10
	s_addc_u32 s3, s14, s11
	s_waitcnt vmcnt(0)
	global_store_dwordx4 v1, v[2:5], s[2:3]
	s_mov_b64 s[2:3], 0
.LBB13_2:
	s_andn2_b64 vcc, exec, s[2:3]
	s_cbranch_vccnz .LBB13_18
; %bb.3:
	s_sub_i32 s6, s8, s0
	v_cmp_gt_u32_e32 vcc, s6, v0
	v_lshlrev_b32_e32 v6, 2, v0
                                        ; implicit-def: $vgpr2_vgpr3_vgpr4_vgpr5
	s_and_saveexec_b64 s[0:1], vcc
	s_cbranch_execz .LBB13_5
; %bb.4:
	global_load_dword v2, v6, s[12:13]
.LBB13_5:
	s_or_b64 exec, exec, s[0:1]
	v_or_b32_e32 v1, 0x100, v0
	v_cmp_gt_u32_e64 s[0:1], s6, v1
	s_and_saveexec_b64 s[2:3], s[0:1]
	s_cbranch_execz .LBB13_7
; %bb.6:
	global_load_dword v3, v6, s[12:13] offset:1024
.LBB13_7:
	s_or_b64 exec, exec, s[2:3]
	v_or_b32_e32 v1, 0x200, v0
	v_cmp_gt_u32_e64 s[2:3], s6, v1
	s_and_saveexec_b64 s[4:5], s[2:3]
	s_cbranch_execz .LBB13_9
; %bb.8:
	global_load_dword v4, v6, s[12:13] offset:2048
.LBB13_9:
	s_or_b64 exec, exec, s[4:5]
	v_or_b32_e32 v1, 0x300, v0
	v_cmp_gt_u32_e64 s[4:5], s6, v1
	v_cmp_le_u32_e64 s[6:7], s6, v1
	s_and_saveexec_b64 s[16:17], s[6:7]
	s_xor_b64 s[6:7], exec, s[16:17]
; %bb.10:
	v_mov_b32_e32 v1, 0
                                        ; implicit-def: $vgpr6
; %bb.11:
	s_andn2_saveexec_b64 s[6:7], s[6:7]
	s_cbranch_execz .LBB13_13
; %bb.12:
	global_load_dword v5, v6, s[12:13] offset:3072
	v_mov_b32_e32 v1, 0
.LBB13_13:
	s_or_b64 exec, exec, s[6:7]
	s_add_u32 s6, s9, s10
	s_addc_u32 s7, s14, s11
	v_lshl_add_u64 v[0:1], v[0:1], 2, s[6:7]
	s_and_saveexec_b64 s[6:7], vcc
	s_cbranch_execnz .LBB13_19
; %bb.14:
	s_or_b64 exec, exec, s[6:7]
	s_and_saveexec_b64 s[6:7], s[0:1]
	s_cbranch_execnz .LBB13_20
.LBB13_15:
	s_or_b64 exec, exec, s[6:7]
	s_and_saveexec_b64 s[0:1], s[2:3]
	s_cbranch_execnz .LBB13_21
.LBB13_16:
	s_or_b64 exec, exec, s[0:1]
	s_and_saveexec_b64 s[0:1], s[4:5]
	s_cbranch_execz .LBB13_18
.LBB13_17:
	s_waitcnt vmcnt(0)
	v_cndmask_b32_e64 v2, v5, v5, s[4:5]
	global_store_dword v[0:1], v2, off offset:3072
.LBB13_18:
	s_endpgm
.LBB13_19:
	s_waitcnt vmcnt(0)
	global_store_dword v[0:1], v2, off
	s_or_b64 exec, exec, s[6:7]
	s_and_saveexec_b64 s[6:7], s[0:1]
	s_cbranch_execz .LBB13_15
.LBB13_20:
	s_waitcnt vmcnt(0)
	global_store_dword v[0:1], v3, off offset:1024
	s_or_b64 exec, exec, s[6:7]
	s_and_saveexec_b64 s[0:1], s[2:3]
	s_cbranch_execz .LBB13_16
.LBB13_21:
	s_waitcnt vmcnt(0)
	v_cndmask_b32_e64 v2, v4, v4, s[2:3]
	global_store_dword v[0:1], v2, off offset:2048
	s_or_b64 exec, exec, s[0:1]
	s_and_saveexec_b64 s[0:1], s[4:5]
	s_cbranch_execnz .LBB13_17
	s_branch .LBB13_18
	.section	.rodata,"a",@progbits
	.p2align	6, 0x0
	.amdhsa_kernel _ZN7rocprim17ROCPRIM_400000_NS6detail17trampoline_kernelINS0_14default_configENS1_25transform_config_selectorIfLb1EEEZNS1_14transform_implILb1ES3_S5_PfS7_NS0_8identityIfEEEE10hipError_tT2_T3_mT4_P12ihipStream_tbEUlT_E_NS1_11comp_targetILNS1_3genE5ELNS1_11target_archE942ELNS1_3gpuE9ELNS1_3repE0EEENS1_30default_config_static_selectorELNS0_4arch9wavefront6targetE1EEEvT1_
		.amdhsa_group_segment_fixed_size 0
		.amdhsa_private_segment_fixed_size 0
		.amdhsa_kernarg_size 296
		.amdhsa_user_sgpr_count 2
		.amdhsa_user_sgpr_dispatch_ptr 0
		.amdhsa_user_sgpr_queue_ptr 0
		.amdhsa_user_sgpr_kernarg_segment_ptr 1
		.amdhsa_user_sgpr_dispatch_id 0
		.amdhsa_user_sgpr_kernarg_preload_length 0
		.amdhsa_user_sgpr_kernarg_preload_offset 0
		.amdhsa_user_sgpr_private_segment_size 0
		.amdhsa_uses_dynamic_stack 0
		.amdhsa_enable_private_segment 0
		.amdhsa_system_sgpr_workgroup_id_x 1
		.amdhsa_system_sgpr_workgroup_id_y 0
		.amdhsa_system_sgpr_workgroup_id_z 0
		.amdhsa_system_sgpr_workgroup_info 0
		.amdhsa_system_vgpr_workitem_id 0
		.amdhsa_next_free_vgpr 7
		.amdhsa_next_free_sgpr 18
		.amdhsa_accum_offset 8
		.amdhsa_reserve_vcc 1
		.amdhsa_float_round_mode_32 0
		.amdhsa_float_round_mode_16_64 0
		.amdhsa_float_denorm_mode_32 3
		.amdhsa_float_denorm_mode_16_64 3
		.amdhsa_dx10_clamp 1
		.amdhsa_ieee_mode 1
		.amdhsa_fp16_overflow 0
		.amdhsa_tg_split 0
		.amdhsa_exception_fp_ieee_invalid_op 0
		.amdhsa_exception_fp_denorm_src 0
		.amdhsa_exception_fp_ieee_div_zero 0
		.amdhsa_exception_fp_ieee_overflow 0
		.amdhsa_exception_fp_ieee_underflow 0
		.amdhsa_exception_fp_ieee_inexact 0
		.amdhsa_exception_int_div_zero 0
	.end_amdhsa_kernel
	.section	.text._ZN7rocprim17ROCPRIM_400000_NS6detail17trampoline_kernelINS0_14default_configENS1_25transform_config_selectorIfLb1EEEZNS1_14transform_implILb1ES3_S5_PfS7_NS0_8identityIfEEEE10hipError_tT2_T3_mT4_P12ihipStream_tbEUlT_E_NS1_11comp_targetILNS1_3genE5ELNS1_11target_archE942ELNS1_3gpuE9ELNS1_3repE0EEENS1_30default_config_static_selectorELNS0_4arch9wavefront6targetE1EEEvT1_,"axG",@progbits,_ZN7rocprim17ROCPRIM_400000_NS6detail17trampoline_kernelINS0_14default_configENS1_25transform_config_selectorIfLb1EEEZNS1_14transform_implILb1ES3_S5_PfS7_NS0_8identityIfEEEE10hipError_tT2_T3_mT4_P12ihipStream_tbEUlT_E_NS1_11comp_targetILNS1_3genE5ELNS1_11target_archE942ELNS1_3gpuE9ELNS1_3repE0EEENS1_30default_config_static_selectorELNS0_4arch9wavefront6targetE1EEEvT1_,comdat
.Lfunc_end13:
	.size	_ZN7rocprim17ROCPRIM_400000_NS6detail17trampoline_kernelINS0_14default_configENS1_25transform_config_selectorIfLb1EEEZNS1_14transform_implILb1ES3_S5_PfS7_NS0_8identityIfEEEE10hipError_tT2_T3_mT4_P12ihipStream_tbEUlT_E_NS1_11comp_targetILNS1_3genE5ELNS1_11target_archE942ELNS1_3gpuE9ELNS1_3repE0EEENS1_30default_config_static_selectorELNS0_4arch9wavefront6targetE1EEEvT1_, .Lfunc_end13-_ZN7rocprim17ROCPRIM_400000_NS6detail17trampoline_kernelINS0_14default_configENS1_25transform_config_selectorIfLb1EEEZNS1_14transform_implILb1ES3_S5_PfS7_NS0_8identityIfEEEE10hipError_tT2_T3_mT4_P12ihipStream_tbEUlT_E_NS1_11comp_targetILNS1_3genE5ELNS1_11target_archE942ELNS1_3gpuE9ELNS1_3repE0EEENS1_30default_config_static_selectorELNS0_4arch9wavefront6targetE1EEEvT1_
                                        ; -- End function
	.section	.AMDGPU.csdata,"",@progbits
; Kernel info:
; codeLenInByte = 452
; NumSgprs: 24
; NumVgprs: 7
; NumAgprs: 0
; TotalNumVgprs: 7
; ScratchSize: 0
; MemoryBound: 1
; FloatMode: 240
; IeeeMode: 1
; LDSByteSize: 0 bytes/workgroup (compile time only)
; SGPRBlocks: 2
; VGPRBlocks: 0
; NumSGPRsForWavesPerEU: 24
; NumVGPRsForWavesPerEU: 7
; AccumOffset: 8
; Occupancy: 8
; WaveLimiterHint : 0
; COMPUTE_PGM_RSRC2:SCRATCH_EN: 0
; COMPUTE_PGM_RSRC2:USER_SGPR: 2
; COMPUTE_PGM_RSRC2:TRAP_HANDLER: 0
; COMPUTE_PGM_RSRC2:TGID_X_EN: 1
; COMPUTE_PGM_RSRC2:TGID_Y_EN: 0
; COMPUTE_PGM_RSRC2:TGID_Z_EN: 0
; COMPUTE_PGM_RSRC2:TIDIG_COMP_CNT: 0
; COMPUTE_PGM_RSRC3_GFX90A:ACCUM_OFFSET: 1
; COMPUTE_PGM_RSRC3_GFX90A:TG_SPLIT: 0
	.section	.text._ZN7rocprim17ROCPRIM_400000_NS6detail17trampoline_kernelINS0_14default_configENS1_25transform_config_selectorIfLb1EEEZNS1_14transform_implILb1ES3_S5_PfS7_NS0_8identityIfEEEE10hipError_tT2_T3_mT4_P12ihipStream_tbEUlT_E_NS1_11comp_targetILNS1_3genE4ELNS1_11target_archE910ELNS1_3gpuE8ELNS1_3repE0EEENS1_30default_config_static_selectorELNS0_4arch9wavefront6targetE1EEEvT1_,"axG",@progbits,_ZN7rocprim17ROCPRIM_400000_NS6detail17trampoline_kernelINS0_14default_configENS1_25transform_config_selectorIfLb1EEEZNS1_14transform_implILb1ES3_S5_PfS7_NS0_8identityIfEEEE10hipError_tT2_T3_mT4_P12ihipStream_tbEUlT_E_NS1_11comp_targetILNS1_3genE4ELNS1_11target_archE910ELNS1_3gpuE8ELNS1_3repE0EEENS1_30default_config_static_selectorELNS0_4arch9wavefront6targetE1EEEvT1_,comdat
	.protected	_ZN7rocprim17ROCPRIM_400000_NS6detail17trampoline_kernelINS0_14default_configENS1_25transform_config_selectorIfLb1EEEZNS1_14transform_implILb1ES3_S5_PfS7_NS0_8identityIfEEEE10hipError_tT2_T3_mT4_P12ihipStream_tbEUlT_E_NS1_11comp_targetILNS1_3genE4ELNS1_11target_archE910ELNS1_3gpuE8ELNS1_3repE0EEENS1_30default_config_static_selectorELNS0_4arch9wavefront6targetE1EEEvT1_ ; -- Begin function _ZN7rocprim17ROCPRIM_400000_NS6detail17trampoline_kernelINS0_14default_configENS1_25transform_config_selectorIfLb1EEEZNS1_14transform_implILb1ES3_S5_PfS7_NS0_8identityIfEEEE10hipError_tT2_T3_mT4_P12ihipStream_tbEUlT_E_NS1_11comp_targetILNS1_3genE4ELNS1_11target_archE910ELNS1_3gpuE8ELNS1_3repE0EEENS1_30default_config_static_selectorELNS0_4arch9wavefront6targetE1EEEvT1_
	.globl	_ZN7rocprim17ROCPRIM_400000_NS6detail17trampoline_kernelINS0_14default_configENS1_25transform_config_selectorIfLb1EEEZNS1_14transform_implILb1ES3_S5_PfS7_NS0_8identityIfEEEE10hipError_tT2_T3_mT4_P12ihipStream_tbEUlT_E_NS1_11comp_targetILNS1_3genE4ELNS1_11target_archE910ELNS1_3gpuE8ELNS1_3repE0EEENS1_30default_config_static_selectorELNS0_4arch9wavefront6targetE1EEEvT1_
	.p2align	8
	.type	_ZN7rocprim17ROCPRIM_400000_NS6detail17trampoline_kernelINS0_14default_configENS1_25transform_config_selectorIfLb1EEEZNS1_14transform_implILb1ES3_S5_PfS7_NS0_8identityIfEEEE10hipError_tT2_T3_mT4_P12ihipStream_tbEUlT_E_NS1_11comp_targetILNS1_3genE4ELNS1_11target_archE910ELNS1_3gpuE8ELNS1_3repE0EEENS1_30default_config_static_selectorELNS0_4arch9wavefront6targetE1EEEvT1_,@function
_ZN7rocprim17ROCPRIM_400000_NS6detail17trampoline_kernelINS0_14default_configENS1_25transform_config_selectorIfLb1EEEZNS1_14transform_implILb1ES3_S5_PfS7_NS0_8identityIfEEEE10hipError_tT2_T3_mT4_P12ihipStream_tbEUlT_E_NS1_11comp_targetILNS1_3genE4ELNS1_11target_archE910ELNS1_3gpuE8ELNS1_3repE0EEENS1_30default_config_static_selectorELNS0_4arch9wavefront6targetE1EEEvT1_: ; @_ZN7rocprim17ROCPRIM_400000_NS6detail17trampoline_kernelINS0_14default_configENS1_25transform_config_selectorIfLb1EEEZNS1_14transform_implILb1ES3_S5_PfS7_NS0_8identityIfEEEE10hipError_tT2_T3_mT4_P12ihipStream_tbEUlT_E_NS1_11comp_targetILNS1_3genE4ELNS1_11target_archE910ELNS1_3gpuE8ELNS1_3repE0EEENS1_30default_config_static_selectorELNS0_4arch9wavefront6targetE1EEEvT1_
; %bb.0:
	.section	.rodata,"a",@progbits
	.p2align	6, 0x0
	.amdhsa_kernel _ZN7rocprim17ROCPRIM_400000_NS6detail17trampoline_kernelINS0_14default_configENS1_25transform_config_selectorIfLb1EEEZNS1_14transform_implILb1ES3_S5_PfS7_NS0_8identityIfEEEE10hipError_tT2_T3_mT4_P12ihipStream_tbEUlT_E_NS1_11comp_targetILNS1_3genE4ELNS1_11target_archE910ELNS1_3gpuE8ELNS1_3repE0EEENS1_30default_config_static_selectorELNS0_4arch9wavefront6targetE1EEEvT1_
		.amdhsa_group_segment_fixed_size 0
		.amdhsa_private_segment_fixed_size 0
		.amdhsa_kernarg_size 40
		.amdhsa_user_sgpr_count 2
		.amdhsa_user_sgpr_dispatch_ptr 0
		.amdhsa_user_sgpr_queue_ptr 0
		.amdhsa_user_sgpr_kernarg_segment_ptr 1
		.amdhsa_user_sgpr_dispatch_id 0
		.amdhsa_user_sgpr_kernarg_preload_length 0
		.amdhsa_user_sgpr_kernarg_preload_offset 0
		.amdhsa_user_sgpr_private_segment_size 0
		.amdhsa_uses_dynamic_stack 0
		.amdhsa_enable_private_segment 0
		.amdhsa_system_sgpr_workgroup_id_x 1
		.amdhsa_system_sgpr_workgroup_id_y 0
		.amdhsa_system_sgpr_workgroup_id_z 0
		.amdhsa_system_sgpr_workgroup_info 0
		.amdhsa_system_vgpr_workitem_id 0
		.amdhsa_next_free_vgpr 1
		.amdhsa_next_free_sgpr 0
		.amdhsa_accum_offset 4
		.amdhsa_reserve_vcc 0
		.amdhsa_float_round_mode_32 0
		.amdhsa_float_round_mode_16_64 0
		.amdhsa_float_denorm_mode_32 3
		.amdhsa_float_denorm_mode_16_64 3
		.amdhsa_dx10_clamp 1
		.amdhsa_ieee_mode 1
		.amdhsa_fp16_overflow 0
		.amdhsa_tg_split 0
		.amdhsa_exception_fp_ieee_invalid_op 0
		.amdhsa_exception_fp_denorm_src 0
		.amdhsa_exception_fp_ieee_div_zero 0
		.amdhsa_exception_fp_ieee_overflow 0
		.amdhsa_exception_fp_ieee_underflow 0
		.amdhsa_exception_fp_ieee_inexact 0
		.amdhsa_exception_int_div_zero 0
	.end_amdhsa_kernel
	.section	.text._ZN7rocprim17ROCPRIM_400000_NS6detail17trampoline_kernelINS0_14default_configENS1_25transform_config_selectorIfLb1EEEZNS1_14transform_implILb1ES3_S5_PfS7_NS0_8identityIfEEEE10hipError_tT2_T3_mT4_P12ihipStream_tbEUlT_E_NS1_11comp_targetILNS1_3genE4ELNS1_11target_archE910ELNS1_3gpuE8ELNS1_3repE0EEENS1_30default_config_static_selectorELNS0_4arch9wavefront6targetE1EEEvT1_,"axG",@progbits,_ZN7rocprim17ROCPRIM_400000_NS6detail17trampoline_kernelINS0_14default_configENS1_25transform_config_selectorIfLb1EEEZNS1_14transform_implILb1ES3_S5_PfS7_NS0_8identityIfEEEE10hipError_tT2_T3_mT4_P12ihipStream_tbEUlT_E_NS1_11comp_targetILNS1_3genE4ELNS1_11target_archE910ELNS1_3gpuE8ELNS1_3repE0EEENS1_30default_config_static_selectorELNS0_4arch9wavefront6targetE1EEEvT1_,comdat
.Lfunc_end14:
	.size	_ZN7rocprim17ROCPRIM_400000_NS6detail17trampoline_kernelINS0_14default_configENS1_25transform_config_selectorIfLb1EEEZNS1_14transform_implILb1ES3_S5_PfS7_NS0_8identityIfEEEE10hipError_tT2_T3_mT4_P12ihipStream_tbEUlT_E_NS1_11comp_targetILNS1_3genE4ELNS1_11target_archE910ELNS1_3gpuE8ELNS1_3repE0EEENS1_30default_config_static_selectorELNS0_4arch9wavefront6targetE1EEEvT1_, .Lfunc_end14-_ZN7rocprim17ROCPRIM_400000_NS6detail17trampoline_kernelINS0_14default_configENS1_25transform_config_selectorIfLb1EEEZNS1_14transform_implILb1ES3_S5_PfS7_NS0_8identityIfEEEE10hipError_tT2_T3_mT4_P12ihipStream_tbEUlT_E_NS1_11comp_targetILNS1_3genE4ELNS1_11target_archE910ELNS1_3gpuE8ELNS1_3repE0EEENS1_30default_config_static_selectorELNS0_4arch9wavefront6targetE1EEEvT1_
                                        ; -- End function
	.section	.AMDGPU.csdata,"",@progbits
; Kernel info:
; codeLenInByte = 0
; NumSgprs: 6
; NumVgprs: 0
; NumAgprs: 0
; TotalNumVgprs: 0
; ScratchSize: 0
; MemoryBound: 0
; FloatMode: 240
; IeeeMode: 1
; LDSByteSize: 0 bytes/workgroup (compile time only)
; SGPRBlocks: 0
; VGPRBlocks: 0
; NumSGPRsForWavesPerEU: 6
; NumVGPRsForWavesPerEU: 1
; AccumOffset: 4
; Occupancy: 8
; WaveLimiterHint : 0
; COMPUTE_PGM_RSRC2:SCRATCH_EN: 0
; COMPUTE_PGM_RSRC2:USER_SGPR: 2
; COMPUTE_PGM_RSRC2:TRAP_HANDLER: 0
; COMPUTE_PGM_RSRC2:TGID_X_EN: 1
; COMPUTE_PGM_RSRC2:TGID_Y_EN: 0
; COMPUTE_PGM_RSRC2:TGID_Z_EN: 0
; COMPUTE_PGM_RSRC2:TIDIG_COMP_CNT: 0
; COMPUTE_PGM_RSRC3_GFX90A:ACCUM_OFFSET: 0
; COMPUTE_PGM_RSRC3_GFX90A:TG_SPLIT: 0
	.section	.text._ZN7rocprim17ROCPRIM_400000_NS6detail17trampoline_kernelINS0_14default_configENS1_25transform_config_selectorIfLb1EEEZNS1_14transform_implILb1ES3_S5_PfS7_NS0_8identityIfEEEE10hipError_tT2_T3_mT4_P12ihipStream_tbEUlT_E_NS1_11comp_targetILNS1_3genE3ELNS1_11target_archE908ELNS1_3gpuE7ELNS1_3repE0EEENS1_30default_config_static_selectorELNS0_4arch9wavefront6targetE1EEEvT1_,"axG",@progbits,_ZN7rocprim17ROCPRIM_400000_NS6detail17trampoline_kernelINS0_14default_configENS1_25transform_config_selectorIfLb1EEEZNS1_14transform_implILb1ES3_S5_PfS7_NS0_8identityIfEEEE10hipError_tT2_T3_mT4_P12ihipStream_tbEUlT_E_NS1_11comp_targetILNS1_3genE3ELNS1_11target_archE908ELNS1_3gpuE7ELNS1_3repE0EEENS1_30default_config_static_selectorELNS0_4arch9wavefront6targetE1EEEvT1_,comdat
	.protected	_ZN7rocprim17ROCPRIM_400000_NS6detail17trampoline_kernelINS0_14default_configENS1_25transform_config_selectorIfLb1EEEZNS1_14transform_implILb1ES3_S5_PfS7_NS0_8identityIfEEEE10hipError_tT2_T3_mT4_P12ihipStream_tbEUlT_E_NS1_11comp_targetILNS1_3genE3ELNS1_11target_archE908ELNS1_3gpuE7ELNS1_3repE0EEENS1_30default_config_static_selectorELNS0_4arch9wavefront6targetE1EEEvT1_ ; -- Begin function _ZN7rocprim17ROCPRIM_400000_NS6detail17trampoline_kernelINS0_14default_configENS1_25transform_config_selectorIfLb1EEEZNS1_14transform_implILb1ES3_S5_PfS7_NS0_8identityIfEEEE10hipError_tT2_T3_mT4_P12ihipStream_tbEUlT_E_NS1_11comp_targetILNS1_3genE3ELNS1_11target_archE908ELNS1_3gpuE7ELNS1_3repE0EEENS1_30default_config_static_selectorELNS0_4arch9wavefront6targetE1EEEvT1_
	.globl	_ZN7rocprim17ROCPRIM_400000_NS6detail17trampoline_kernelINS0_14default_configENS1_25transform_config_selectorIfLb1EEEZNS1_14transform_implILb1ES3_S5_PfS7_NS0_8identityIfEEEE10hipError_tT2_T3_mT4_P12ihipStream_tbEUlT_E_NS1_11comp_targetILNS1_3genE3ELNS1_11target_archE908ELNS1_3gpuE7ELNS1_3repE0EEENS1_30default_config_static_selectorELNS0_4arch9wavefront6targetE1EEEvT1_
	.p2align	8
	.type	_ZN7rocprim17ROCPRIM_400000_NS6detail17trampoline_kernelINS0_14default_configENS1_25transform_config_selectorIfLb1EEEZNS1_14transform_implILb1ES3_S5_PfS7_NS0_8identityIfEEEE10hipError_tT2_T3_mT4_P12ihipStream_tbEUlT_E_NS1_11comp_targetILNS1_3genE3ELNS1_11target_archE908ELNS1_3gpuE7ELNS1_3repE0EEENS1_30default_config_static_selectorELNS0_4arch9wavefront6targetE1EEEvT1_,@function
_ZN7rocprim17ROCPRIM_400000_NS6detail17trampoline_kernelINS0_14default_configENS1_25transform_config_selectorIfLb1EEEZNS1_14transform_implILb1ES3_S5_PfS7_NS0_8identityIfEEEE10hipError_tT2_T3_mT4_P12ihipStream_tbEUlT_E_NS1_11comp_targetILNS1_3genE3ELNS1_11target_archE908ELNS1_3gpuE7ELNS1_3repE0EEENS1_30default_config_static_selectorELNS0_4arch9wavefront6targetE1EEEvT1_: ; @_ZN7rocprim17ROCPRIM_400000_NS6detail17trampoline_kernelINS0_14default_configENS1_25transform_config_selectorIfLb1EEEZNS1_14transform_implILb1ES3_S5_PfS7_NS0_8identityIfEEEE10hipError_tT2_T3_mT4_P12ihipStream_tbEUlT_E_NS1_11comp_targetILNS1_3genE3ELNS1_11target_archE908ELNS1_3gpuE7ELNS1_3repE0EEENS1_30default_config_static_selectorELNS0_4arch9wavefront6targetE1EEEvT1_
; %bb.0:
	.section	.rodata,"a",@progbits
	.p2align	6, 0x0
	.amdhsa_kernel _ZN7rocprim17ROCPRIM_400000_NS6detail17trampoline_kernelINS0_14default_configENS1_25transform_config_selectorIfLb1EEEZNS1_14transform_implILb1ES3_S5_PfS7_NS0_8identityIfEEEE10hipError_tT2_T3_mT4_P12ihipStream_tbEUlT_E_NS1_11comp_targetILNS1_3genE3ELNS1_11target_archE908ELNS1_3gpuE7ELNS1_3repE0EEENS1_30default_config_static_selectorELNS0_4arch9wavefront6targetE1EEEvT1_
		.amdhsa_group_segment_fixed_size 0
		.amdhsa_private_segment_fixed_size 0
		.amdhsa_kernarg_size 40
		.amdhsa_user_sgpr_count 2
		.amdhsa_user_sgpr_dispatch_ptr 0
		.amdhsa_user_sgpr_queue_ptr 0
		.amdhsa_user_sgpr_kernarg_segment_ptr 1
		.amdhsa_user_sgpr_dispatch_id 0
		.amdhsa_user_sgpr_kernarg_preload_length 0
		.amdhsa_user_sgpr_kernarg_preload_offset 0
		.amdhsa_user_sgpr_private_segment_size 0
		.amdhsa_uses_dynamic_stack 0
		.amdhsa_enable_private_segment 0
		.amdhsa_system_sgpr_workgroup_id_x 1
		.amdhsa_system_sgpr_workgroup_id_y 0
		.amdhsa_system_sgpr_workgroup_id_z 0
		.amdhsa_system_sgpr_workgroup_info 0
		.amdhsa_system_vgpr_workitem_id 0
		.amdhsa_next_free_vgpr 1
		.amdhsa_next_free_sgpr 0
		.amdhsa_accum_offset 4
		.amdhsa_reserve_vcc 0
		.amdhsa_float_round_mode_32 0
		.amdhsa_float_round_mode_16_64 0
		.amdhsa_float_denorm_mode_32 3
		.amdhsa_float_denorm_mode_16_64 3
		.amdhsa_dx10_clamp 1
		.amdhsa_ieee_mode 1
		.amdhsa_fp16_overflow 0
		.amdhsa_tg_split 0
		.amdhsa_exception_fp_ieee_invalid_op 0
		.amdhsa_exception_fp_denorm_src 0
		.amdhsa_exception_fp_ieee_div_zero 0
		.amdhsa_exception_fp_ieee_overflow 0
		.amdhsa_exception_fp_ieee_underflow 0
		.amdhsa_exception_fp_ieee_inexact 0
		.amdhsa_exception_int_div_zero 0
	.end_amdhsa_kernel
	.section	.text._ZN7rocprim17ROCPRIM_400000_NS6detail17trampoline_kernelINS0_14default_configENS1_25transform_config_selectorIfLb1EEEZNS1_14transform_implILb1ES3_S5_PfS7_NS0_8identityIfEEEE10hipError_tT2_T3_mT4_P12ihipStream_tbEUlT_E_NS1_11comp_targetILNS1_3genE3ELNS1_11target_archE908ELNS1_3gpuE7ELNS1_3repE0EEENS1_30default_config_static_selectorELNS0_4arch9wavefront6targetE1EEEvT1_,"axG",@progbits,_ZN7rocprim17ROCPRIM_400000_NS6detail17trampoline_kernelINS0_14default_configENS1_25transform_config_selectorIfLb1EEEZNS1_14transform_implILb1ES3_S5_PfS7_NS0_8identityIfEEEE10hipError_tT2_T3_mT4_P12ihipStream_tbEUlT_E_NS1_11comp_targetILNS1_3genE3ELNS1_11target_archE908ELNS1_3gpuE7ELNS1_3repE0EEENS1_30default_config_static_selectorELNS0_4arch9wavefront6targetE1EEEvT1_,comdat
.Lfunc_end15:
	.size	_ZN7rocprim17ROCPRIM_400000_NS6detail17trampoline_kernelINS0_14default_configENS1_25transform_config_selectorIfLb1EEEZNS1_14transform_implILb1ES3_S5_PfS7_NS0_8identityIfEEEE10hipError_tT2_T3_mT4_P12ihipStream_tbEUlT_E_NS1_11comp_targetILNS1_3genE3ELNS1_11target_archE908ELNS1_3gpuE7ELNS1_3repE0EEENS1_30default_config_static_selectorELNS0_4arch9wavefront6targetE1EEEvT1_, .Lfunc_end15-_ZN7rocprim17ROCPRIM_400000_NS6detail17trampoline_kernelINS0_14default_configENS1_25transform_config_selectorIfLb1EEEZNS1_14transform_implILb1ES3_S5_PfS7_NS0_8identityIfEEEE10hipError_tT2_T3_mT4_P12ihipStream_tbEUlT_E_NS1_11comp_targetILNS1_3genE3ELNS1_11target_archE908ELNS1_3gpuE7ELNS1_3repE0EEENS1_30default_config_static_selectorELNS0_4arch9wavefront6targetE1EEEvT1_
                                        ; -- End function
	.section	.AMDGPU.csdata,"",@progbits
; Kernel info:
; codeLenInByte = 0
; NumSgprs: 6
; NumVgprs: 0
; NumAgprs: 0
; TotalNumVgprs: 0
; ScratchSize: 0
; MemoryBound: 0
; FloatMode: 240
; IeeeMode: 1
; LDSByteSize: 0 bytes/workgroup (compile time only)
; SGPRBlocks: 0
; VGPRBlocks: 0
; NumSGPRsForWavesPerEU: 6
; NumVGPRsForWavesPerEU: 1
; AccumOffset: 4
; Occupancy: 8
; WaveLimiterHint : 0
; COMPUTE_PGM_RSRC2:SCRATCH_EN: 0
; COMPUTE_PGM_RSRC2:USER_SGPR: 2
; COMPUTE_PGM_RSRC2:TRAP_HANDLER: 0
; COMPUTE_PGM_RSRC2:TGID_X_EN: 1
; COMPUTE_PGM_RSRC2:TGID_Y_EN: 0
; COMPUTE_PGM_RSRC2:TGID_Z_EN: 0
; COMPUTE_PGM_RSRC2:TIDIG_COMP_CNT: 0
; COMPUTE_PGM_RSRC3_GFX90A:ACCUM_OFFSET: 0
; COMPUTE_PGM_RSRC3_GFX90A:TG_SPLIT: 0
	.section	.text._ZN7rocprim17ROCPRIM_400000_NS6detail17trampoline_kernelINS0_14default_configENS1_25transform_config_selectorIfLb1EEEZNS1_14transform_implILb1ES3_S5_PfS7_NS0_8identityIfEEEE10hipError_tT2_T3_mT4_P12ihipStream_tbEUlT_E_NS1_11comp_targetILNS1_3genE2ELNS1_11target_archE906ELNS1_3gpuE6ELNS1_3repE0EEENS1_30default_config_static_selectorELNS0_4arch9wavefront6targetE1EEEvT1_,"axG",@progbits,_ZN7rocprim17ROCPRIM_400000_NS6detail17trampoline_kernelINS0_14default_configENS1_25transform_config_selectorIfLb1EEEZNS1_14transform_implILb1ES3_S5_PfS7_NS0_8identityIfEEEE10hipError_tT2_T3_mT4_P12ihipStream_tbEUlT_E_NS1_11comp_targetILNS1_3genE2ELNS1_11target_archE906ELNS1_3gpuE6ELNS1_3repE0EEENS1_30default_config_static_selectorELNS0_4arch9wavefront6targetE1EEEvT1_,comdat
	.protected	_ZN7rocprim17ROCPRIM_400000_NS6detail17trampoline_kernelINS0_14default_configENS1_25transform_config_selectorIfLb1EEEZNS1_14transform_implILb1ES3_S5_PfS7_NS0_8identityIfEEEE10hipError_tT2_T3_mT4_P12ihipStream_tbEUlT_E_NS1_11comp_targetILNS1_3genE2ELNS1_11target_archE906ELNS1_3gpuE6ELNS1_3repE0EEENS1_30default_config_static_selectorELNS0_4arch9wavefront6targetE1EEEvT1_ ; -- Begin function _ZN7rocprim17ROCPRIM_400000_NS6detail17trampoline_kernelINS0_14default_configENS1_25transform_config_selectorIfLb1EEEZNS1_14transform_implILb1ES3_S5_PfS7_NS0_8identityIfEEEE10hipError_tT2_T3_mT4_P12ihipStream_tbEUlT_E_NS1_11comp_targetILNS1_3genE2ELNS1_11target_archE906ELNS1_3gpuE6ELNS1_3repE0EEENS1_30default_config_static_selectorELNS0_4arch9wavefront6targetE1EEEvT1_
	.globl	_ZN7rocprim17ROCPRIM_400000_NS6detail17trampoline_kernelINS0_14default_configENS1_25transform_config_selectorIfLb1EEEZNS1_14transform_implILb1ES3_S5_PfS7_NS0_8identityIfEEEE10hipError_tT2_T3_mT4_P12ihipStream_tbEUlT_E_NS1_11comp_targetILNS1_3genE2ELNS1_11target_archE906ELNS1_3gpuE6ELNS1_3repE0EEENS1_30default_config_static_selectorELNS0_4arch9wavefront6targetE1EEEvT1_
	.p2align	8
	.type	_ZN7rocprim17ROCPRIM_400000_NS6detail17trampoline_kernelINS0_14default_configENS1_25transform_config_selectorIfLb1EEEZNS1_14transform_implILb1ES3_S5_PfS7_NS0_8identityIfEEEE10hipError_tT2_T3_mT4_P12ihipStream_tbEUlT_E_NS1_11comp_targetILNS1_3genE2ELNS1_11target_archE906ELNS1_3gpuE6ELNS1_3repE0EEENS1_30default_config_static_selectorELNS0_4arch9wavefront6targetE1EEEvT1_,@function
_ZN7rocprim17ROCPRIM_400000_NS6detail17trampoline_kernelINS0_14default_configENS1_25transform_config_selectorIfLb1EEEZNS1_14transform_implILb1ES3_S5_PfS7_NS0_8identityIfEEEE10hipError_tT2_T3_mT4_P12ihipStream_tbEUlT_E_NS1_11comp_targetILNS1_3genE2ELNS1_11target_archE906ELNS1_3gpuE6ELNS1_3repE0EEENS1_30default_config_static_selectorELNS0_4arch9wavefront6targetE1EEEvT1_: ; @_ZN7rocprim17ROCPRIM_400000_NS6detail17trampoline_kernelINS0_14default_configENS1_25transform_config_selectorIfLb1EEEZNS1_14transform_implILb1ES3_S5_PfS7_NS0_8identityIfEEEE10hipError_tT2_T3_mT4_P12ihipStream_tbEUlT_E_NS1_11comp_targetILNS1_3genE2ELNS1_11target_archE906ELNS1_3gpuE6ELNS1_3repE0EEENS1_30default_config_static_selectorELNS0_4arch9wavefront6targetE1EEEvT1_
; %bb.0:
	.section	.rodata,"a",@progbits
	.p2align	6, 0x0
	.amdhsa_kernel _ZN7rocprim17ROCPRIM_400000_NS6detail17trampoline_kernelINS0_14default_configENS1_25transform_config_selectorIfLb1EEEZNS1_14transform_implILb1ES3_S5_PfS7_NS0_8identityIfEEEE10hipError_tT2_T3_mT4_P12ihipStream_tbEUlT_E_NS1_11comp_targetILNS1_3genE2ELNS1_11target_archE906ELNS1_3gpuE6ELNS1_3repE0EEENS1_30default_config_static_selectorELNS0_4arch9wavefront6targetE1EEEvT1_
		.amdhsa_group_segment_fixed_size 0
		.amdhsa_private_segment_fixed_size 0
		.amdhsa_kernarg_size 40
		.amdhsa_user_sgpr_count 2
		.amdhsa_user_sgpr_dispatch_ptr 0
		.amdhsa_user_sgpr_queue_ptr 0
		.amdhsa_user_sgpr_kernarg_segment_ptr 1
		.amdhsa_user_sgpr_dispatch_id 0
		.amdhsa_user_sgpr_kernarg_preload_length 0
		.amdhsa_user_sgpr_kernarg_preload_offset 0
		.amdhsa_user_sgpr_private_segment_size 0
		.amdhsa_uses_dynamic_stack 0
		.amdhsa_enable_private_segment 0
		.amdhsa_system_sgpr_workgroup_id_x 1
		.amdhsa_system_sgpr_workgroup_id_y 0
		.amdhsa_system_sgpr_workgroup_id_z 0
		.amdhsa_system_sgpr_workgroup_info 0
		.amdhsa_system_vgpr_workitem_id 0
		.amdhsa_next_free_vgpr 1
		.amdhsa_next_free_sgpr 0
		.amdhsa_accum_offset 4
		.amdhsa_reserve_vcc 0
		.amdhsa_float_round_mode_32 0
		.amdhsa_float_round_mode_16_64 0
		.amdhsa_float_denorm_mode_32 3
		.amdhsa_float_denorm_mode_16_64 3
		.amdhsa_dx10_clamp 1
		.amdhsa_ieee_mode 1
		.amdhsa_fp16_overflow 0
		.amdhsa_tg_split 0
		.amdhsa_exception_fp_ieee_invalid_op 0
		.amdhsa_exception_fp_denorm_src 0
		.amdhsa_exception_fp_ieee_div_zero 0
		.amdhsa_exception_fp_ieee_overflow 0
		.amdhsa_exception_fp_ieee_underflow 0
		.amdhsa_exception_fp_ieee_inexact 0
		.amdhsa_exception_int_div_zero 0
	.end_amdhsa_kernel
	.section	.text._ZN7rocprim17ROCPRIM_400000_NS6detail17trampoline_kernelINS0_14default_configENS1_25transform_config_selectorIfLb1EEEZNS1_14transform_implILb1ES3_S5_PfS7_NS0_8identityIfEEEE10hipError_tT2_T3_mT4_P12ihipStream_tbEUlT_E_NS1_11comp_targetILNS1_3genE2ELNS1_11target_archE906ELNS1_3gpuE6ELNS1_3repE0EEENS1_30default_config_static_selectorELNS0_4arch9wavefront6targetE1EEEvT1_,"axG",@progbits,_ZN7rocprim17ROCPRIM_400000_NS6detail17trampoline_kernelINS0_14default_configENS1_25transform_config_selectorIfLb1EEEZNS1_14transform_implILb1ES3_S5_PfS7_NS0_8identityIfEEEE10hipError_tT2_T3_mT4_P12ihipStream_tbEUlT_E_NS1_11comp_targetILNS1_3genE2ELNS1_11target_archE906ELNS1_3gpuE6ELNS1_3repE0EEENS1_30default_config_static_selectorELNS0_4arch9wavefront6targetE1EEEvT1_,comdat
.Lfunc_end16:
	.size	_ZN7rocprim17ROCPRIM_400000_NS6detail17trampoline_kernelINS0_14default_configENS1_25transform_config_selectorIfLb1EEEZNS1_14transform_implILb1ES3_S5_PfS7_NS0_8identityIfEEEE10hipError_tT2_T3_mT4_P12ihipStream_tbEUlT_E_NS1_11comp_targetILNS1_3genE2ELNS1_11target_archE906ELNS1_3gpuE6ELNS1_3repE0EEENS1_30default_config_static_selectorELNS0_4arch9wavefront6targetE1EEEvT1_, .Lfunc_end16-_ZN7rocprim17ROCPRIM_400000_NS6detail17trampoline_kernelINS0_14default_configENS1_25transform_config_selectorIfLb1EEEZNS1_14transform_implILb1ES3_S5_PfS7_NS0_8identityIfEEEE10hipError_tT2_T3_mT4_P12ihipStream_tbEUlT_E_NS1_11comp_targetILNS1_3genE2ELNS1_11target_archE906ELNS1_3gpuE6ELNS1_3repE0EEENS1_30default_config_static_selectorELNS0_4arch9wavefront6targetE1EEEvT1_
                                        ; -- End function
	.section	.AMDGPU.csdata,"",@progbits
; Kernel info:
; codeLenInByte = 0
; NumSgprs: 6
; NumVgprs: 0
; NumAgprs: 0
; TotalNumVgprs: 0
; ScratchSize: 0
; MemoryBound: 0
; FloatMode: 240
; IeeeMode: 1
; LDSByteSize: 0 bytes/workgroup (compile time only)
; SGPRBlocks: 0
; VGPRBlocks: 0
; NumSGPRsForWavesPerEU: 6
; NumVGPRsForWavesPerEU: 1
; AccumOffset: 4
; Occupancy: 8
; WaveLimiterHint : 0
; COMPUTE_PGM_RSRC2:SCRATCH_EN: 0
; COMPUTE_PGM_RSRC2:USER_SGPR: 2
; COMPUTE_PGM_RSRC2:TRAP_HANDLER: 0
; COMPUTE_PGM_RSRC2:TGID_X_EN: 1
; COMPUTE_PGM_RSRC2:TGID_Y_EN: 0
; COMPUTE_PGM_RSRC2:TGID_Z_EN: 0
; COMPUTE_PGM_RSRC2:TIDIG_COMP_CNT: 0
; COMPUTE_PGM_RSRC3_GFX90A:ACCUM_OFFSET: 0
; COMPUTE_PGM_RSRC3_GFX90A:TG_SPLIT: 0
	.section	.text._ZN7rocprim17ROCPRIM_400000_NS6detail17trampoline_kernelINS0_14default_configENS1_25transform_config_selectorIfLb1EEEZNS1_14transform_implILb1ES3_S5_PfS7_NS0_8identityIfEEEE10hipError_tT2_T3_mT4_P12ihipStream_tbEUlT_E_NS1_11comp_targetILNS1_3genE9ELNS1_11target_archE1100ELNS1_3gpuE3ELNS1_3repE0EEENS1_30default_config_static_selectorELNS0_4arch9wavefront6targetE1EEEvT1_,"axG",@progbits,_ZN7rocprim17ROCPRIM_400000_NS6detail17trampoline_kernelINS0_14default_configENS1_25transform_config_selectorIfLb1EEEZNS1_14transform_implILb1ES3_S5_PfS7_NS0_8identityIfEEEE10hipError_tT2_T3_mT4_P12ihipStream_tbEUlT_E_NS1_11comp_targetILNS1_3genE9ELNS1_11target_archE1100ELNS1_3gpuE3ELNS1_3repE0EEENS1_30default_config_static_selectorELNS0_4arch9wavefront6targetE1EEEvT1_,comdat
	.protected	_ZN7rocprim17ROCPRIM_400000_NS6detail17trampoline_kernelINS0_14default_configENS1_25transform_config_selectorIfLb1EEEZNS1_14transform_implILb1ES3_S5_PfS7_NS0_8identityIfEEEE10hipError_tT2_T3_mT4_P12ihipStream_tbEUlT_E_NS1_11comp_targetILNS1_3genE9ELNS1_11target_archE1100ELNS1_3gpuE3ELNS1_3repE0EEENS1_30default_config_static_selectorELNS0_4arch9wavefront6targetE1EEEvT1_ ; -- Begin function _ZN7rocprim17ROCPRIM_400000_NS6detail17trampoline_kernelINS0_14default_configENS1_25transform_config_selectorIfLb1EEEZNS1_14transform_implILb1ES3_S5_PfS7_NS0_8identityIfEEEE10hipError_tT2_T3_mT4_P12ihipStream_tbEUlT_E_NS1_11comp_targetILNS1_3genE9ELNS1_11target_archE1100ELNS1_3gpuE3ELNS1_3repE0EEENS1_30default_config_static_selectorELNS0_4arch9wavefront6targetE1EEEvT1_
	.globl	_ZN7rocprim17ROCPRIM_400000_NS6detail17trampoline_kernelINS0_14default_configENS1_25transform_config_selectorIfLb1EEEZNS1_14transform_implILb1ES3_S5_PfS7_NS0_8identityIfEEEE10hipError_tT2_T3_mT4_P12ihipStream_tbEUlT_E_NS1_11comp_targetILNS1_3genE9ELNS1_11target_archE1100ELNS1_3gpuE3ELNS1_3repE0EEENS1_30default_config_static_selectorELNS0_4arch9wavefront6targetE1EEEvT1_
	.p2align	8
	.type	_ZN7rocprim17ROCPRIM_400000_NS6detail17trampoline_kernelINS0_14default_configENS1_25transform_config_selectorIfLb1EEEZNS1_14transform_implILb1ES3_S5_PfS7_NS0_8identityIfEEEE10hipError_tT2_T3_mT4_P12ihipStream_tbEUlT_E_NS1_11comp_targetILNS1_3genE9ELNS1_11target_archE1100ELNS1_3gpuE3ELNS1_3repE0EEENS1_30default_config_static_selectorELNS0_4arch9wavefront6targetE1EEEvT1_,@function
_ZN7rocprim17ROCPRIM_400000_NS6detail17trampoline_kernelINS0_14default_configENS1_25transform_config_selectorIfLb1EEEZNS1_14transform_implILb1ES3_S5_PfS7_NS0_8identityIfEEEE10hipError_tT2_T3_mT4_P12ihipStream_tbEUlT_E_NS1_11comp_targetILNS1_3genE9ELNS1_11target_archE1100ELNS1_3gpuE3ELNS1_3repE0EEENS1_30default_config_static_selectorELNS0_4arch9wavefront6targetE1EEEvT1_: ; @_ZN7rocprim17ROCPRIM_400000_NS6detail17trampoline_kernelINS0_14default_configENS1_25transform_config_selectorIfLb1EEEZNS1_14transform_implILb1ES3_S5_PfS7_NS0_8identityIfEEEE10hipError_tT2_T3_mT4_P12ihipStream_tbEUlT_E_NS1_11comp_targetILNS1_3genE9ELNS1_11target_archE1100ELNS1_3gpuE3ELNS1_3repE0EEENS1_30default_config_static_selectorELNS0_4arch9wavefront6targetE1EEEvT1_
; %bb.0:
	.section	.rodata,"a",@progbits
	.p2align	6, 0x0
	.amdhsa_kernel _ZN7rocprim17ROCPRIM_400000_NS6detail17trampoline_kernelINS0_14default_configENS1_25transform_config_selectorIfLb1EEEZNS1_14transform_implILb1ES3_S5_PfS7_NS0_8identityIfEEEE10hipError_tT2_T3_mT4_P12ihipStream_tbEUlT_E_NS1_11comp_targetILNS1_3genE9ELNS1_11target_archE1100ELNS1_3gpuE3ELNS1_3repE0EEENS1_30default_config_static_selectorELNS0_4arch9wavefront6targetE1EEEvT1_
		.amdhsa_group_segment_fixed_size 0
		.amdhsa_private_segment_fixed_size 0
		.amdhsa_kernarg_size 40
		.amdhsa_user_sgpr_count 2
		.amdhsa_user_sgpr_dispatch_ptr 0
		.amdhsa_user_sgpr_queue_ptr 0
		.amdhsa_user_sgpr_kernarg_segment_ptr 1
		.amdhsa_user_sgpr_dispatch_id 0
		.amdhsa_user_sgpr_kernarg_preload_length 0
		.amdhsa_user_sgpr_kernarg_preload_offset 0
		.amdhsa_user_sgpr_private_segment_size 0
		.amdhsa_uses_dynamic_stack 0
		.amdhsa_enable_private_segment 0
		.amdhsa_system_sgpr_workgroup_id_x 1
		.amdhsa_system_sgpr_workgroup_id_y 0
		.amdhsa_system_sgpr_workgroup_id_z 0
		.amdhsa_system_sgpr_workgroup_info 0
		.amdhsa_system_vgpr_workitem_id 0
		.amdhsa_next_free_vgpr 1
		.amdhsa_next_free_sgpr 0
		.amdhsa_accum_offset 4
		.amdhsa_reserve_vcc 0
		.amdhsa_float_round_mode_32 0
		.amdhsa_float_round_mode_16_64 0
		.amdhsa_float_denorm_mode_32 3
		.amdhsa_float_denorm_mode_16_64 3
		.amdhsa_dx10_clamp 1
		.amdhsa_ieee_mode 1
		.amdhsa_fp16_overflow 0
		.amdhsa_tg_split 0
		.amdhsa_exception_fp_ieee_invalid_op 0
		.amdhsa_exception_fp_denorm_src 0
		.amdhsa_exception_fp_ieee_div_zero 0
		.amdhsa_exception_fp_ieee_overflow 0
		.amdhsa_exception_fp_ieee_underflow 0
		.amdhsa_exception_fp_ieee_inexact 0
		.amdhsa_exception_int_div_zero 0
	.end_amdhsa_kernel
	.section	.text._ZN7rocprim17ROCPRIM_400000_NS6detail17trampoline_kernelINS0_14default_configENS1_25transform_config_selectorIfLb1EEEZNS1_14transform_implILb1ES3_S5_PfS7_NS0_8identityIfEEEE10hipError_tT2_T3_mT4_P12ihipStream_tbEUlT_E_NS1_11comp_targetILNS1_3genE9ELNS1_11target_archE1100ELNS1_3gpuE3ELNS1_3repE0EEENS1_30default_config_static_selectorELNS0_4arch9wavefront6targetE1EEEvT1_,"axG",@progbits,_ZN7rocprim17ROCPRIM_400000_NS6detail17trampoline_kernelINS0_14default_configENS1_25transform_config_selectorIfLb1EEEZNS1_14transform_implILb1ES3_S5_PfS7_NS0_8identityIfEEEE10hipError_tT2_T3_mT4_P12ihipStream_tbEUlT_E_NS1_11comp_targetILNS1_3genE9ELNS1_11target_archE1100ELNS1_3gpuE3ELNS1_3repE0EEENS1_30default_config_static_selectorELNS0_4arch9wavefront6targetE1EEEvT1_,comdat
.Lfunc_end17:
	.size	_ZN7rocprim17ROCPRIM_400000_NS6detail17trampoline_kernelINS0_14default_configENS1_25transform_config_selectorIfLb1EEEZNS1_14transform_implILb1ES3_S5_PfS7_NS0_8identityIfEEEE10hipError_tT2_T3_mT4_P12ihipStream_tbEUlT_E_NS1_11comp_targetILNS1_3genE9ELNS1_11target_archE1100ELNS1_3gpuE3ELNS1_3repE0EEENS1_30default_config_static_selectorELNS0_4arch9wavefront6targetE1EEEvT1_, .Lfunc_end17-_ZN7rocprim17ROCPRIM_400000_NS6detail17trampoline_kernelINS0_14default_configENS1_25transform_config_selectorIfLb1EEEZNS1_14transform_implILb1ES3_S5_PfS7_NS0_8identityIfEEEE10hipError_tT2_T3_mT4_P12ihipStream_tbEUlT_E_NS1_11comp_targetILNS1_3genE9ELNS1_11target_archE1100ELNS1_3gpuE3ELNS1_3repE0EEENS1_30default_config_static_selectorELNS0_4arch9wavefront6targetE1EEEvT1_
                                        ; -- End function
	.section	.AMDGPU.csdata,"",@progbits
; Kernel info:
; codeLenInByte = 0
; NumSgprs: 6
; NumVgprs: 0
; NumAgprs: 0
; TotalNumVgprs: 0
; ScratchSize: 0
; MemoryBound: 0
; FloatMode: 240
; IeeeMode: 1
; LDSByteSize: 0 bytes/workgroup (compile time only)
; SGPRBlocks: 0
; VGPRBlocks: 0
; NumSGPRsForWavesPerEU: 6
; NumVGPRsForWavesPerEU: 1
; AccumOffset: 4
; Occupancy: 8
; WaveLimiterHint : 0
; COMPUTE_PGM_RSRC2:SCRATCH_EN: 0
; COMPUTE_PGM_RSRC2:USER_SGPR: 2
; COMPUTE_PGM_RSRC2:TRAP_HANDLER: 0
; COMPUTE_PGM_RSRC2:TGID_X_EN: 1
; COMPUTE_PGM_RSRC2:TGID_Y_EN: 0
; COMPUTE_PGM_RSRC2:TGID_Z_EN: 0
; COMPUTE_PGM_RSRC2:TIDIG_COMP_CNT: 0
; COMPUTE_PGM_RSRC3_GFX90A:ACCUM_OFFSET: 0
; COMPUTE_PGM_RSRC3_GFX90A:TG_SPLIT: 0
	.section	.text._ZN7rocprim17ROCPRIM_400000_NS6detail17trampoline_kernelINS0_14default_configENS1_25transform_config_selectorIfLb1EEEZNS1_14transform_implILb1ES3_S5_PfS7_NS0_8identityIfEEEE10hipError_tT2_T3_mT4_P12ihipStream_tbEUlT_E_NS1_11comp_targetILNS1_3genE8ELNS1_11target_archE1030ELNS1_3gpuE2ELNS1_3repE0EEENS1_30default_config_static_selectorELNS0_4arch9wavefront6targetE1EEEvT1_,"axG",@progbits,_ZN7rocprim17ROCPRIM_400000_NS6detail17trampoline_kernelINS0_14default_configENS1_25transform_config_selectorIfLb1EEEZNS1_14transform_implILb1ES3_S5_PfS7_NS0_8identityIfEEEE10hipError_tT2_T3_mT4_P12ihipStream_tbEUlT_E_NS1_11comp_targetILNS1_3genE8ELNS1_11target_archE1030ELNS1_3gpuE2ELNS1_3repE0EEENS1_30default_config_static_selectorELNS0_4arch9wavefront6targetE1EEEvT1_,comdat
	.protected	_ZN7rocprim17ROCPRIM_400000_NS6detail17trampoline_kernelINS0_14default_configENS1_25transform_config_selectorIfLb1EEEZNS1_14transform_implILb1ES3_S5_PfS7_NS0_8identityIfEEEE10hipError_tT2_T3_mT4_P12ihipStream_tbEUlT_E_NS1_11comp_targetILNS1_3genE8ELNS1_11target_archE1030ELNS1_3gpuE2ELNS1_3repE0EEENS1_30default_config_static_selectorELNS0_4arch9wavefront6targetE1EEEvT1_ ; -- Begin function _ZN7rocprim17ROCPRIM_400000_NS6detail17trampoline_kernelINS0_14default_configENS1_25transform_config_selectorIfLb1EEEZNS1_14transform_implILb1ES3_S5_PfS7_NS0_8identityIfEEEE10hipError_tT2_T3_mT4_P12ihipStream_tbEUlT_E_NS1_11comp_targetILNS1_3genE8ELNS1_11target_archE1030ELNS1_3gpuE2ELNS1_3repE0EEENS1_30default_config_static_selectorELNS0_4arch9wavefront6targetE1EEEvT1_
	.globl	_ZN7rocprim17ROCPRIM_400000_NS6detail17trampoline_kernelINS0_14default_configENS1_25transform_config_selectorIfLb1EEEZNS1_14transform_implILb1ES3_S5_PfS7_NS0_8identityIfEEEE10hipError_tT2_T3_mT4_P12ihipStream_tbEUlT_E_NS1_11comp_targetILNS1_3genE8ELNS1_11target_archE1030ELNS1_3gpuE2ELNS1_3repE0EEENS1_30default_config_static_selectorELNS0_4arch9wavefront6targetE1EEEvT1_
	.p2align	8
	.type	_ZN7rocprim17ROCPRIM_400000_NS6detail17trampoline_kernelINS0_14default_configENS1_25transform_config_selectorIfLb1EEEZNS1_14transform_implILb1ES3_S5_PfS7_NS0_8identityIfEEEE10hipError_tT2_T3_mT4_P12ihipStream_tbEUlT_E_NS1_11comp_targetILNS1_3genE8ELNS1_11target_archE1030ELNS1_3gpuE2ELNS1_3repE0EEENS1_30default_config_static_selectorELNS0_4arch9wavefront6targetE1EEEvT1_,@function
_ZN7rocprim17ROCPRIM_400000_NS6detail17trampoline_kernelINS0_14default_configENS1_25transform_config_selectorIfLb1EEEZNS1_14transform_implILb1ES3_S5_PfS7_NS0_8identityIfEEEE10hipError_tT2_T3_mT4_P12ihipStream_tbEUlT_E_NS1_11comp_targetILNS1_3genE8ELNS1_11target_archE1030ELNS1_3gpuE2ELNS1_3repE0EEENS1_30default_config_static_selectorELNS0_4arch9wavefront6targetE1EEEvT1_: ; @_ZN7rocprim17ROCPRIM_400000_NS6detail17trampoline_kernelINS0_14default_configENS1_25transform_config_selectorIfLb1EEEZNS1_14transform_implILb1ES3_S5_PfS7_NS0_8identityIfEEEE10hipError_tT2_T3_mT4_P12ihipStream_tbEUlT_E_NS1_11comp_targetILNS1_3genE8ELNS1_11target_archE1030ELNS1_3gpuE2ELNS1_3repE0EEENS1_30default_config_static_selectorELNS0_4arch9wavefront6targetE1EEEvT1_
; %bb.0:
	.section	.rodata,"a",@progbits
	.p2align	6, 0x0
	.amdhsa_kernel _ZN7rocprim17ROCPRIM_400000_NS6detail17trampoline_kernelINS0_14default_configENS1_25transform_config_selectorIfLb1EEEZNS1_14transform_implILb1ES3_S5_PfS7_NS0_8identityIfEEEE10hipError_tT2_T3_mT4_P12ihipStream_tbEUlT_E_NS1_11comp_targetILNS1_3genE8ELNS1_11target_archE1030ELNS1_3gpuE2ELNS1_3repE0EEENS1_30default_config_static_selectorELNS0_4arch9wavefront6targetE1EEEvT1_
		.amdhsa_group_segment_fixed_size 0
		.amdhsa_private_segment_fixed_size 0
		.amdhsa_kernarg_size 40
		.amdhsa_user_sgpr_count 2
		.amdhsa_user_sgpr_dispatch_ptr 0
		.amdhsa_user_sgpr_queue_ptr 0
		.amdhsa_user_sgpr_kernarg_segment_ptr 1
		.amdhsa_user_sgpr_dispatch_id 0
		.amdhsa_user_sgpr_kernarg_preload_length 0
		.amdhsa_user_sgpr_kernarg_preload_offset 0
		.amdhsa_user_sgpr_private_segment_size 0
		.amdhsa_uses_dynamic_stack 0
		.amdhsa_enable_private_segment 0
		.amdhsa_system_sgpr_workgroup_id_x 1
		.amdhsa_system_sgpr_workgroup_id_y 0
		.amdhsa_system_sgpr_workgroup_id_z 0
		.amdhsa_system_sgpr_workgroup_info 0
		.amdhsa_system_vgpr_workitem_id 0
		.amdhsa_next_free_vgpr 1
		.amdhsa_next_free_sgpr 0
		.amdhsa_accum_offset 4
		.amdhsa_reserve_vcc 0
		.amdhsa_float_round_mode_32 0
		.amdhsa_float_round_mode_16_64 0
		.amdhsa_float_denorm_mode_32 3
		.amdhsa_float_denorm_mode_16_64 3
		.amdhsa_dx10_clamp 1
		.amdhsa_ieee_mode 1
		.amdhsa_fp16_overflow 0
		.amdhsa_tg_split 0
		.amdhsa_exception_fp_ieee_invalid_op 0
		.amdhsa_exception_fp_denorm_src 0
		.amdhsa_exception_fp_ieee_div_zero 0
		.amdhsa_exception_fp_ieee_overflow 0
		.amdhsa_exception_fp_ieee_underflow 0
		.amdhsa_exception_fp_ieee_inexact 0
		.amdhsa_exception_int_div_zero 0
	.end_amdhsa_kernel
	.section	.text._ZN7rocprim17ROCPRIM_400000_NS6detail17trampoline_kernelINS0_14default_configENS1_25transform_config_selectorIfLb1EEEZNS1_14transform_implILb1ES3_S5_PfS7_NS0_8identityIfEEEE10hipError_tT2_T3_mT4_P12ihipStream_tbEUlT_E_NS1_11comp_targetILNS1_3genE8ELNS1_11target_archE1030ELNS1_3gpuE2ELNS1_3repE0EEENS1_30default_config_static_selectorELNS0_4arch9wavefront6targetE1EEEvT1_,"axG",@progbits,_ZN7rocprim17ROCPRIM_400000_NS6detail17trampoline_kernelINS0_14default_configENS1_25transform_config_selectorIfLb1EEEZNS1_14transform_implILb1ES3_S5_PfS7_NS0_8identityIfEEEE10hipError_tT2_T3_mT4_P12ihipStream_tbEUlT_E_NS1_11comp_targetILNS1_3genE8ELNS1_11target_archE1030ELNS1_3gpuE2ELNS1_3repE0EEENS1_30default_config_static_selectorELNS0_4arch9wavefront6targetE1EEEvT1_,comdat
.Lfunc_end18:
	.size	_ZN7rocprim17ROCPRIM_400000_NS6detail17trampoline_kernelINS0_14default_configENS1_25transform_config_selectorIfLb1EEEZNS1_14transform_implILb1ES3_S5_PfS7_NS0_8identityIfEEEE10hipError_tT2_T3_mT4_P12ihipStream_tbEUlT_E_NS1_11comp_targetILNS1_3genE8ELNS1_11target_archE1030ELNS1_3gpuE2ELNS1_3repE0EEENS1_30default_config_static_selectorELNS0_4arch9wavefront6targetE1EEEvT1_, .Lfunc_end18-_ZN7rocprim17ROCPRIM_400000_NS6detail17trampoline_kernelINS0_14default_configENS1_25transform_config_selectorIfLb1EEEZNS1_14transform_implILb1ES3_S5_PfS7_NS0_8identityIfEEEE10hipError_tT2_T3_mT4_P12ihipStream_tbEUlT_E_NS1_11comp_targetILNS1_3genE8ELNS1_11target_archE1030ELNS1_3gpuE2ELNS1_3repE0EEENS1_30default_config_static_selectorELNS0_4arch9wavefront6targetE1EEEvT1_
                                        ; -- End function
	.section	.AMDGPU.csdata,"",@progbits
; Kernel info:
; codeLenInByte = 0
; NumSgprs: 6
; NumVgprs: 0
; NumAgprs: 0
; TotalNumVgprs: 0
; ScratchSize: 0
; MemoryBound: 0
; FloatMode: 240
; IeeeMode: 1
; LDSByteSize: 0 bytes/workgroup (compile time only)
; SGPRBlocks: 0
; VGPRBlocks: 0
; NumSGPRsForWavesPerEU: 6
; NumVGPRsForWavesPerEU: 1
; AccumOffset: 4
; Occupancy: 8
; WaveLimiterHint : 0
; COMPUTE_PGM_RSRC2:SCRATCH_EN: 0
; COMPUTE_PGM_RSRC2:USER_SGPR: 2
; COMPUTE_PGM_RSRC2:TRAP_HANDLER: 0
; COMPUTE_PGM_RSRC2:TGID_X_EN: 1
; COMPUTE_PGM_RSRC2:TGID_Y_EN: 0
; COMPUTE_PGM_RSRC2:TGID_Z_EN: 0
; COMPUTE_PGM_RSRC2:TIDIG_COMP_CNT: 0
; COMPUTE_PGM_RSRC3_GFX90A:ACCUM_OFFSET: 0
; COMPUTE_PGM_RSRC3_GFX90A:TG_SPLIT: 0
	.section	.text._ZN7rocprim17ROCPRIM_400000_NS6detail17trampoline_kernelINS0_14default_configENS1_20scan_config_selectorIfEEZZNS1_9scan_implILNS1_25lookback_scan_determinismE0ELb1ELb1ES3_N6thrust23THRUST_200600_302600_NS6detail15normal_iteratorINS9_10device_ptrIKfEEEENSB_INSC_IfEEEEfNS9_4plusIvEEfEEDaPvRmT3_T4_T5_mT6_P12ihipStream_tbENKUlT_T0_E_clISt17integral_constantIbLb0EESX_EEDaSS_ST_EUlSS_E0_NS1_11comp_targetILNS1_3genE0ELNS1_11target_archE4294967295ELNS1_3gpuE0ELNS1_3repE0EEENS1_30default_config_static_selectorELNS0_4arch9wavefront6targetE1EEEvT1_,"axG",@progbits,_ZN7rocprim17ROCPRIM_400000_NS6detail17trampoline_kernelINS0_14default_configENS1_20scan_config_selectorIfEEZZNS1_9scan_implILNS1_25lookback_scan_determinismE0ELb1ELb1ES3_N6thrust23THRUST_200600_302600_NS6detail15normal_iteratorINS9_10device_ptrIKfEEEENSB_INSC_IfEEEEfNS9_4plusIvEEfEEDaPvRmT3_T4_T5_mT6_P12ihipStream_tbENKUlT_T0_E_clISt17integral_constantIbLb0EESX_EEDaSS_ST_EUlSS_E0_NS1_11comp_targetILNS1_3genE0ELNS1_11target_archE4294967295ELNS1_3gpuE0ELNS1_3repE0EEENS1_30default_config_static_selectorELNS0_4arch9wavefront6targetE1EEEvT1_,comdat
	.protected	_ZN7rocprim17ROCPRIM_400000_NS6detail17trampoline_kernelINS0_14default_configENS1_20scan_config_selectorIfEEZZNS1_9scan_implILNS1_25lookback_scan_determinismE0ELb1ELb1ES3_N6thrust23THRUST_200600_302600_NS6detail15normal_iteratorINS9_10device_ptrIKfEEEENSB_INSC_IfEEEEfNS9_4plusIvEEfEEDaPvRmT3_T4_T5_mT6_P12ihipStream_tbENKUlT_T0_E_clISt17integral_constantIbLb0EESX_EEDaSS_ST_EUlSS_E0_NS1_11comp_targetILNS1_3genE0ELNS1_11target_archE4294967295ELNS1_3gpuE0ELNS1_3repE0EEENS1_30default_config_static_selectorELNS0_4arch9wavefront6targetE1EEEvT1_ ; -- Begin function _ZN7rocprim17ROCPRIM_400000_NS6detail17trampoline_kernelINS0_14default_configENS1_20scan_config_selectorIfEEZZNS1_9scan_implILNS1_25lookback_scan_determinismE0ELb1ELb1ES3_N6thrust23THRUST_200600_302600_NS6detail15normal_iteratorINS9_10device_ptrIKfEEEENSB_INSC_IfEEEEfNS9_4plusIvEEfEEDaPvRmT3_T4_T5_mT6_P12ihipStream_tbENKUlT_T0_E_clISt17integral_constantIbLb0EESX_EEDaSS_ST_EUlSS_E0_NS1_11comp_targetILNS1_3genE0ELNS1_11target_archE4294967295ELNS1_3gpuE0ELNS1_3repE0EEENS1_30default_config_static_selectorELNS0_4arch9wavefront6targetE1EEEvT1_
	.globl	_ZN7rocprim17ROCPRIM_400000_NS6detail17trampoline_kernelINS0_14default_configENS1_20scan_config_selectorIfEEZZNS1_9scan_implILNS1_25lookback_scan_determinismE0ELb1ELb1ES3_N6thrust23THRUST_200600_302600_NS6detail15normal_iteratorINS9_10device_ptrIKfEEEENSB_INSC_IfEEEEfNS9_4plusIvEEfEEDaPvRmT3_T4_T5_mT6_P12ihipStream_tbENKUlT_T0_E_clISt17integral_constantIbLb0EESX_EEDaSS_ST_EUlSS_E0_NS1_11comp_targetILNS1_3genE0ELNS1_11target_archE4294967295ELNS1_3gpuE0ELNS1_3repE0EEENS1_30default_config_static_selectorELNS0_4arch9wavefront6targetE1EEEvT1_
	.p2align	8
	.type	_ZN7rocprim17ROCPRIM_400000_NS6detail17trampoline_kernelINS0_14default_configENS1_20scan_config_selectorIfEEZZNS1_9scan_implILNS1_25lookback_scan_determinismE0ELb1ELb1ES3_N6thrust23THRUST_200600_302600_NS6detail15normal_iteratorINS9_10device_ptrIKfEEEENSB_INSC_IfEEEEfNS9_4plusIvEEfEEDaPvRmT3_T4_T5_mT6_P12ihipStream_tbENKUlT_T0_E_clISt17integral_constantIbLb0EESX_EEDaSS_ST_EUlSS_E0_NS1_11comp_targetILNS1_3genE0ELNS1_11target_archE4294967295ELNS1_3gpuE0ELNS1_3repE0EEENS1_30default_config_static_selectorELNS0_4arch9wavefront6targetE1EEEvT1_,@function
_ZN7rocprim17ROCPRIM_400000_NS6detail17trampoline_kernelINS0_14default_configENS1_20scan_config_selectorIfEEZZNS1_9scan_implILNS1_25lookback_scan_determinismE0ELb1ELb1ES3_N6thrust23THRUST_200600_302600_NS6detail15normal_iteratorINS9_10device_ptrIKfEEEENSB_INSC_IfEEEEfNS9_4plusIvEEfEEDaPvRmT3_T4_T5_mT6_P12ihipStream_tbENKUlT_T0_E_clISt17integral_constantIbLb0EESX_EEDaSS_ST_EUlSS_E0_NS1_11comp_targetILNS1_3genE0ELNS1_11target_archE4294967295ELNS1_3gpuE0ELNS1_3repE0EEENS1_30default_config_static_selectorELNS0_4arch9wavefront6targetE1EEEvT1_: ; @_ZN7rocprim17ROCPRIM_400000_NS6detail17trampoline_kernelINS0_14default_configENS1_20scan_config_selectorIfEEZZNS1_9scan_implILNS1_25lookback_scan_determinismE0ELb1ELb1ES3_N6thrust23THRUST_200600_302600_NS6detail15normal_iteratorINS9_10device_ptrIKfEEEENSB_INSC_IfEEEEfNS9_4plusIvEEfEEDaPvRmT3_T4_T5_mT6_P12ihipStream_tbENKUlT_T0_E_clISt17integral_constantIbLb0EESX_EEDaSS_ST_EUlSS_E0_NS1_11comp_targetILNS1_3genE0ELNS1_11target_archE4294967295ELNS1_3gpuE0ELNS1_3repE0EEENS1_30default_config_static_selectorELNS0_4arch9wavefront6targetE1EEEvT1_
; %bb.0:
	.section	.rodata,"a",@progbits
	.p2align	6, 0x0
	.amdhsa_kernel _ZN7rocprim17ROCPRIM_400000_NS6detail17trampoline_kernelINS0_14default_configENS1_20scan_config_selectorIfEEZZNS1_9scan_implILNS1_25lookback_scan_determinismE0ELb1ELb1ES3_N6thrust23THRUST_200600_302600_NS6detail15normal_iteratorINS9_10device_ptrIKfEEEENSB_INSC_IfEEEEfNS9_4plusIvEEfEEDaPvRmT3_T4_T5_mT6_P12ihipStream_tbENKUlT_T0_E_clISt17integral_constantIbLb0EESX_EEDaSS_ST_EUlSS_E0_NS1_11comp_targetILNS1_3genE0ELNS1_11target_archE4294967295ELNS1_3gpuE0ELNS1_3repE0EEENS1_30default_config_static_selectorELNS0_4arch9wavefront6targetE1EEEvT1_
		.amdhsa_group_segment_fixed_size 0
		.amdhsa_private_segment_fixed_size 0
		.amdhsa_kernarg_size 32
		.amdhsa_user_sgpr_count 2
		.amdhsa_user_sgpr_dispatch_ptr 0
		.amdhsa_user_sgpr_queue_ptr 0
		.amdhsa_user_sgpr_kernarg_segment_ptr 1
		.amdhsa_user_sgpr_dispatch_id 0
		.amdhsa_user_sgpr_kernarg_preload_length 0
		.amdhsa_user_sgpr_kernarg_preload_offset 0
		.amdhsa_user_sgpr_private_segment_size 0
		.amdhsa_uses_dynamic_stack 0
		.amdhsa_enable_private_segment 0
		.amdhsa_system_sgpr_workgroup_id_x 1
		.amdhsa_system_sgpr_workgroup_id_y 0
		.amdhsa_system_sgpr_workgroup_id_z 0
		.amdhsa_system_sgpr_workgroup_info 0
		.amdhsa_system_vgpr_workitem_id 0
		.amdhsa_next_free_vgpr 1
		.amdhsa_next_free_sgpr 0
		.amdhsa_accum_offset 4
		.amdhsa_reserve_vcc 0
		.amdhsa_float_round_mode_32 0
		.amdhsa_float_round_mode_16_64 0
		.amdhsa_float_denorm_mode_32 3
		.amdhsa_float_denorm_mode_16_64 3
		.amdhsa_dx10_clamp 1
		.amdhsa_ieee_mode 1
		.amdhsa_fp16_overflow 0
		.amdhsa_tg_split 0
		.amdhsa_exception_fp_ieee_invalid_op 0
		.amdhsa_exception_fp_denorm_src 0
		.amdhsa_exception_fp_ieee_div_zero 0
		.amdhsa_exception_fp_ieee_overflow 0
		.amdhsa_exception_fp_ieee_underflow 0
		.amdhsa_exception_fp_ieee_inexact 0
		.amdhsa_exception_int_div_zero 0
	.end_amdhsa_kernel
	.section	.text._ZN7rocprim17ROCPRIM_400000_NS6detail17trampoline_kernelINS0_14default_configENS1_20scan_config_selectorIfEEZZNS1_9scan_implILNS1_25lookback_scan_determinismE0ELb1ELb1ES3_N6thrust23THRUST_200600_302600_NS6detail15normal_iteratorINS9_10device_ptrIKfEEEENSB_INSC_IfEEEEfNS9_4plusIvEEfEEDaPvRmT3_T4_T5_mT6_P12ihipStream_tbENKUlT_T0_E_clISt17integral_constantIbLb0EESX_EEDaSS_ST_EUlSS_E0_NS1_11comp_targetILNS1_3genE0ELNS1_11target_archE4294967295ELNS1_3gpuE0ELNS1_3repE0EEENS1_30default_config_static_selectorELNS0_4arch9wavefront6targetE1EEEvT1_,"axG",@progbits,_ZN7rocprim17ROCPRIM_400000_NS6detail17trampoline_kernelINS0_14default_configENS1_20scan_config_selectorIfEEZZNS1_9scan_implILNS1_25lookback_scan_determinismE0ELb1ELb1ES3_N6thrust23THRUST_200600_302600_NS6detail15normal_iteratorINS9_10device_ptrIKfEEEENSB_INSC_IfEEEEfNS9_4plusIvEEfEEDaPvRmT3_T4_T5_mT6_P12ihipStream_tbENKUlT_T0_E_clISt17integral_constantIbLb0EESX_EEDaSS_ST_EUlSS_E0_NS1_11comp_targetILNS1_3genE0ELNS1_11target_archE4294967295ELNS1_3gpuE0ELNS1_3repE0EEENS1_30default_config_static_selectorELNS0_4arch9wavefront6targetE1EEEvT1_,comdat
.Lfunc_end19:
	.size	_ZN7rocprim17ROCPRIM_400000_NS6detail17trampoline_kernelINS0_14default_configENS1_20scan_config_selectorIfEEZZNS1_9scan_implILNS1_25lookback_scan_determinismE0ELb1ELb1ES3_N6thrust23THRUST_200600_302600_NS6detail15normal_iteratorINS9_10device_ptrIKfEEEENSB_INSC_IfEEEEfNS9_4plusIvEEfEEDaPvRmT3_T4_T5_mT6_P12ihipStream_tbENKUlT_T0_E_clISt17integral_constantIbLb0EESX_EEDaSS_ST_EUlSS_E0_NS1_11comp_targetILNS1_3genE0ELNS1_11target_archE4294967295ELNS1_3gpuE0ELNS1_3repE0EEENS1_30default_config_static_selectorELNS0_4arch9wavefront6targetE1EEEvT1_, .Lfunc_end19-_ZN7rocprim17ROCPRIM_400000_NS6detail17trampoline_kernelINS0_14default_configENS1_20scan_config_selectorIfEEZZNS1_9scan_implILNS1_25lookback_scan_determinismE0ELb1ELb1ES3_N6thrust23THRUST_200600_302600_NS6detail15normal_iteratorINS9_10device_ptrIKfEEEENSB_INSC_IfEEEEfNS9_4plusIvEEfEEDaPvRmT3_T4_T5_mT6_P12ihipStream_tbENKUlT_T0_E_clISt17integral_constantIbLb0EESX_EEDaSS_ST_EUlSS_E0_NS1_11comp_targetILNS1_3genE0ELNS1_11target_archE4294967295ELNS1_3gpuE0ELNS1_3repE0EEENS1_30default_config_static_selectorELNS0_4arch9wavefront6targetE1EEEvT1_
                                        ; -- End function
	.section	.AMDGPU.csdata,"",@progbits
; Kernel info:
; codeLenInByte = 0
; NumSgprs: 6
; NumVgprs: 0
; NumAgprs: 0
; TotalNumVgprs: 0
; ScratchSize: 0
; MemoryBound: 0
; FloatMode: 240
; IeeeMode: 1
; LDSByteSize: 0 bytes/workgroup (compile time only)
; SGPRBlocks: 0
; VGPRBlocks: 0
; NumSGPRsForWavesPerEU: 6
; NumVGPRsForWavesPerEU: 1
; AccumOffset: 4
; Occupancy: 8
; WaveLimiterHint : 0
; COMPUTE_PGM_RSRC2:SCRATCH_EN: 0
; COMPUTE_PGM_RSRC2:USER_SGPR: 2
; COMPUTE_PGM_RSRC2:TRAP_HANDLER: 0
; COMPUTE_PGM_RSRC2:TGID_X_EN: 1
; COMPUTE_PGM_RSRC2:TGID_Y_EN: 0
; COMPUTE_PGM_RSRC2:TGID_Z_EN: 0
; COMPUTE_PGM_RSRC2:TIDIG_COMP_CNT: 0
; COMPUTE_PGM_RSRC3_GFX90A:ACCUM_OFFSET: 0
; COMPUTE_PGM_RSRC3_GFX90A:TG_SPLIT: 0
	.section	.text._ZN7rocprim17ROCPRIM_400000_NS6detail17trampoline_kernelINS0_14default_configENS1_20scan_config_selectorIfEEZZNS1_9scan_implILNS1_25lookback_scan_determinismE0ELb1ELb1ES3_N6thrust23THRUST_200600_302600_NS6detail15normal_iteratorINS9_10device_ptrIKfEEEENSB_INSC_IfEEEEfNS9_4plusIvEEfEEDaPvRmT3_T4_T5_mT6_P12ihipStream_tbENKUlT_T0_E_clISt17integral_constantIbLb0EESX_EEDaSS_ST_EUlSS_E0_NS1_11comp_targetILNS1_3genE5ELNS1_11target_archE942ELNS1_3gpuE9ELNS1_3repE0EEENS1_30default_config_static_selectorELNS0_4arch9wavefront6targetE1EEEvT1_,"axG",@progbits,_ZN7rocprim17ROCPRIM_400000_NS6detail17trampoline_kernelINS0_14default_configENS1_20scan_config_selectorIfEEZZNS1_9scan_implILNS1_25lookback_scan_determinismE0ELb1ELb1ES3_N6thrust23THRUST_200600_302600_NS6detail15normal_iteratorINS9_10device_ptrIKfEEEENSB_INSC_IfEEEEfNS9_4plusIvEEfEEDaPvRmT3_T4_T5_mT6_P12ihipStream_tbENKUlT_T0_E_clISt17integral_constantIbLb0EESX_EEDaSS_ST_EUlSS_E0_NS1_11comp_targetILNS1_3genE5ELNS1_11target_archE942ELNS1_3gpuE9ELNS1_3repE0EEENS1_30default_config_static_selectorELNS0_4arch9wavefront6targetE1EEEvT1_,comdat
	.protected	_ZN7rocprim17ROCPRIM_400000_NS6detail17trampoline_kernelINS0_14default_configENS1_20scan_config_selectorIfEEZZNS1_9scan_implILNS1_25lookback_scan_determinismE0ELb1ELb1ES3_N6thrust23THRUST_200600_302600_NS6detail15normal_iteratorINS9_10device_ptrIKfEEEENSB_INSC_IfEEEEfNS9_4plusIvEEfEEDaPvRmT3_T4_T5_mT6_P12ihipStream_tbENKUlT_T0_E_clISt17integral_constantIbLb0EESX_EEDaSS_ST_EUlSS_E0_NS1_11comp_targetILNS1_3genE5ELNS1_11target_archE942ELNS1_3gpuE9ELNS1_3repE0EEENS1_30default_config_static_selectorELNS0_4arch9wavefront6targetE1EEEvT1_ ; -- Begin function _ZN7rocprim17ROCPRIM_400000_NS6detail17trampoline_kernelINS0_14default_configENS1_20scan_config_selectorIfEEZZNS1_9scan_implILNS1_25lookback_scan_determinismE0ELb1ELb1ES3_N6thrust23THRUST_200600_302600_NS6detail15normal_iteratorINS9_10device_ptrIKfEEEENSB_INSC_IfEEEEfNS9_4plusIvEEfEEDaPvRmT3_T4_T5_mT6_P12ihipStream_tbENKUlT_T0_E_clISt17integral_constantIbLb0EESX_EEDaSS_ST_EUlSS_E0_NS1_11comp_targetILNS1_3genE5ELNS1_11target_archE942ELNS1_3gpuE9ELNS1_3repE0EEENS1_30default_config_static_selectorELNS0_4arch9wavefront6targetE1EEEvT1_
	.globl	_ZN7rocprim17ROCPRIM_400000_NS6detail17trampoline_kernelINS0_14default_configENS1_20scan_config_selectorIfEEZZNS1_9scan_implILNS1_25lookback_scan_determinismE0ELb1ELb1ES3_N6thrust23THRUST_200600_302600_NS6detail15normal_iteratorINS9_10device_ptrIKfEEEENSB_INSC_IfEEEEfNS9_4plusIvEEfEEDaPvRmT3_T4_T5_mT6_P12ihipStream_tbENKUlT_T0_E_clISt17integral_constantIbLb0EESX_EEDaSS_ST_EUlSS_E0_NS1_11comp_targetILNS1_3genE5ELNS1_11target_archE942ELNS1_3gpuE9ELNS1_3repE0EEENS1_30default_config_static_selectorELNS0_4arch9wavefront6targetE1EEEvT1_
	.p2align	8
	.type	_ZN7rocprim17ROCPRIM_400000_NS6detail17trampoline_kernelINS0_14default_configENS1_20scan_config_selectorIfEEZZNS1_9scan_implILNS1_25lookback_scan_determinismE0ELb1ELb1ES3_N6thrust23THRUST_200600_302600_NS6detail15normal_iteratorINS9_10device_ptrIKfEEEENSB_INSC_IfEEEEfNS9_4plusIvEEfEEDaPvRmT3_T4_T5_mT6_P12ihipStream_tbENKUlT_T0_E_clISt17integral_constantIbLb0EESX_EEDaSS_ST_EUlSS_E0_NS1_11comp_targetILNS1_3genE5ELNS1_11target_archE942ELNS1_3gpuE9ELNS1_3repE0EEENS1_30default_config_static_selectorELNS0_4arch9wavefront6targetE1EEEvT1_,@function
_ZN7rocprim17ROCPRIM_400000_NS6detail17trampoline_kernelINS0_14default_configENS1_20scan_config_selectorIfEEZZNS1_9scan_implILNS1_25lookback_scan_determinismE0ELb1ELb1ES3_N6thrust23THRUST_200600_302600_NS6detail15normal_iteratorINS9_10device_ptrIKfEEEENSB_INSC_IfEEEEfNS9_4plusIvEEfEEDaPvRmT3_T4_T5_mT6_P12ihipStream_tbENKUlT_T0_E_clISt17integral_constantIbLb0EESX_EEDaSS_ST_EUlSS_E0_NS1_11comp_targetILNS1_3genE5ELNS1_11target_archE942ELNS1_3gpuE9ELNS1_3repE0EEENS1_30default_config_static_selectorELNS0_4arch9wavefront6targetE1EEEvT1_: ; @_ZN7rocprim17ROCPRIM_400000_NS6detail17trampoline_kernelINS0_14default_configENS1_20scan_config_selectorIfEEZZNS1_9scan_implILNS1_25lookback_scan_determinismE0ELb1ELb1ES3_N6thrust23THRUST_200600_302600_NS6detail15normal_iteratorINS9_10device_ptrIKfEEEENSB_INSC_IfEEEEfNS9_4plusIvEEfEEDaPvRmT3_T4_T5_mT6_P12ihipStream_tbENKUlT_T0_E_clISt17integral_constantIbLb0EESX_EEDaSS_ST_EUlSS_E0_NS1_11comp_targetILNS1_3genE5ELNS1_11target_archE942ELNS1_3gpuE9ELNS1_3repE0EEENS1_30default_config_static_selectorELNS0_4arch9wavefront6targetE1EEEvT1_
; %bb.0:
	s_load_dwordx4 s[52:55], s[0:1], 0x0
	v_lshlrev_b32_e32 v30, 2, v0
	s_waitcnt lgkmcnt(0)
	s_load_dword s33, s[52:53], 0x0
	v_cmp_gt_u32_e32 vcc, s54, v0
	s_waitcnt lgkmcnt(0)
	v_mov_b32_e32 v1, s33
	s_and_saveexec_b64 s[2:3], vcc
	s_cbranch_execz .LBB20_2
; %bb.1:
	global_load_dword v1, v30, s[52:53]
.LBB20_2:
	s_or_b64 exec, exec, s[2:3]
	v_or_b32_e32 v2, 0x100, v0
	v_cmp_gt_u32_e64 s[48:49], s54, v2
	v_mov_b32_e32 v2, s33
	s_and_saveexec_b64 s[2:3], s[48:49]
	s_cbranch_execz .LBB20_4
; %bb.3:
	global_load_dword v2, v30, s[52:53] offset:1024
.LBB20_4:
	s_or_b64 exec, exec, s[2:3]
	v_or_b32_e32 v3, 0x200, v0
	v_cmp_gt_u32_e64 s[2:3], s54, v3
	v_mov_b32_e32 v3, s33
	s_and_saveexec_b64 s[4:5], s[2:3]
	s_cbranch_execz .LBB20_6
; %bb.5:
	global_load_dword v3, v30, s[52:53] offset:2048
.LBB20_6:
	;; [unrolled: 9-line block ×3, first 2 shown]
	s_or_b64 exec, exec, s[6:7]
	v_or_b32_e32 v6, 0x400, v0
	v_cmp_gt_u32_e64 s[6:7], s54, v6
	v_mov_b32_e32 v5, s33
	s_and_saveexec_b64 s[8:9], s[6:7]
	s_cbranch_execz .LBB20_10
; %bb.9:
	v_lshlrev_b32_e32 v5, 2, v6
	global_load_dword v5, v5, s[52:53]
.LBB20_10:
	s_or_b64 exec, exec, s[8:9]
	v_or_b32_e32 v7, 0x500, v0
	v_cmp_gt_u32_e64 s[8:9], s54, v7
	v_mov_b32_e32 v6, s33
	s_and_saveexec_b64 s[10:11], s[8:9]
	s_cbranch_execz .LBB20_12
; %bb.11:
	v_lshlrev_b32_e32 v6, 2, v7
	global_load_dword v6, v6, s[52:53]
.LBB20_12:
	;; [unrolled: 10-line block ×19, first 2 shown]
	s_or_b64 exec, exec, s[46:47]
	s_load_dword s58, s[0:1], 0x10
	v_or_b32_e32 v25, 0x1700, v0
	v_cmp_gt_u32_e64 s[46:47], s54, v25
	v_mov_b32_e32 v24, s33
	s_and_saveexec_b64 s[50:51], s[46:47]
	s_cbranch_execz .LBB20_48
; %bb.47:
	v_lshlrev_b32_e32 v24, 2, v25
	global_load_dword v24, v24, s[52:53]
.LBB20_48:
	s_or_b64 exec, exec, s[50:51]
	s_movk_i32 s33, 0x5c
	s_waitcnt vmcnt(0)
	ds_write2st64_b32 v30, v1, v2 offset1:4
	ds_write2st64_b32 v30, v3, v4 offset0:8 offset1:12
	ds_write2st64_b32 v30, v5, v6 offset0:16 offset1:20
	;; [unrolled: 1-line block ×11, first 2 shown]
	v_mad_u32_u24 v1, v0, s33, v30
	s_waitcnt lgkmcnt(0)
	s_barrier
	ds_read_b128 v[22:25], v1
	ds_read_b128 v[18:21], v1 offset:16
	ds_read_b128 v[14:17], v1 offset:32
	ds_read_b128 v[10:13], v1 offset:48
	ds_read_b128 v[6:9], v1 offset:64
	ds_read_b128 v[2:5], v1 offset:80
	s_waitcnt lgkmcnt(5)
	v_add_f32_e32 v26, v22, v23
	v_add_f32_e32 v26, v26, v24
	v_add_f32_e32 v26, v26, v25
	s_waitcnt lgkmcnt(4)
	v_add_f32_e32 v26, v26, v18
	v_add_f32_e32 v26, v26, v19
	v_add_f32_e32 v26, v26, v20
	v_add_f32_e32 v26, v26, v21
	s_waitcnt lgkmcnt(3)
	v_add_f32_e32 v26, v26, v14
	;; [unrolled: 5-line block ×5, first 2 shown]
	v_add_f32_e32 v26, v26, v3
	v_add_f32_e32 v26, v26, v4
	;; [unrolled: 1-line block ×3, first 2 shown]
	v_lshrrev_b32_e32 v26, 3, v0
	v_and_b32_e32 v27, 28, v26
	v_add_u32_e32 v27, v30, v27
	v_cmp_gt_u32_e64 s[50:51], 64, v0
	s_barrier
	ds_write_b32 v27, v5
	s_waitcnt lgkmcnt(0)
	s_barrier
	s_and_saveexec_b64 s[56:57], s[50:51]
	s_cbranch_execz .LBB20_50
; %bb.49:
	v_add_lshl_u32 v31, v26, v30, 2
	ds_read2_b32 v[26:27], v31 offset1:1
	ds_read2_b32 v[28:29], v31 offset0:2 offset1:3
	v_mbcnt_lo_u32_b32 v32, -1, 0
	v_mbcnt_hi_u32_b32 v32, -1, v32
	v_and_b32_e32 v33, 15, v32
	s_waitcnt lgkmcnt(1)
	v_add_f32_e32 v27, v26, v27
	s_waitcnt lgkmcnt(0)
	v_add_f32_e32 v27, v27, v28
	v_add_f32_e32 v27, v27, v29
	v_cmp_eq_u32_e64 s[50:51], 0, v33
	v_cmp_lt_u32_e64 s[52:53], 3, v33
	v_mov_b32_dpp v28, v27 row_shr:1 row_mask:0xf bank_mask:0xf
	v_add_f32_e32 v28, v27, v28
	v_cndmask_b32_e64 v27, v28, v27, s[50:51]
	v_cmp_lt_u32_e64 s[50:51], 1, v33
	v_cmp_lt_u32_e64 s[54:55], 31, v32
	v_mov_b32_dpp v28, v27 row_shr:2 row_mask:0xf bank_mask:0xf
	v_add_f32_e32 v28, v27, v28
	v_cndmask_b32_e64 v28, v27, v28, s[50:51]
	; wave barrier
	s_nop 1
	v_mov_b32_dpp v29, v28 row_shr:4 row_mask:0xf bank_mask:0xf
	v_add_f32_e32 v29, v28, v29
	v_cndmask_b32_e64 v28, v28, v29, s[52:53]
	v_cmp_lt_u32_e64 s[52:53], 7, v33
	v_and_b32_e32 v33, 16, v32
	v_mov_b32_dpp v29, v28 row_shr:8 row_mask:0xf bank_mask:0xf
	v_add_f32_e32 v29, v28, v29
	v_cndmask_b32_e64 v28, v28, v29, s[52:53]
	v_cmp_eq_u32_e64 s[52:53], 0, v33
	s_nop 0
	v_mov_b32_dpp v29, v28 row_bcast:15 row_mask:0xf bank_mask:0xf
	v_add_f32_e32 v29, v28, v29
	v_cndmask_b32_e64 v28, v29, v28, s[52:53]
	v_cmp_lt_u32_e64 s[52:53], 15, v32
	s_or_b64 s[50:51], s[52:53], s[50:51]
	v_mov_b32_dpp v29, v28 row_bcast:31 row_mask:0xf bank_mask:0xf
	v_add_f32_e32 v29, v28, v29
	v_cndmask_b32_e64 v28, v28, v29, s[54:55]
	v_cndmask_b32_e64 v27, v27, v28, s[50:51]
	v_add_u32_e32 v28, -1, v32
	v_and_b32_e32 v29, 64, v32
	v_cmp_lt_i32_e64 s[50:51], v28, v29
	s_nop 1
	v_cndmask_b32_e64 v28, v28, v32, s[50:51]
	v_lshlrev_b32_e32 v28, 2, v28
	ds_bpermute_b32 v27, v28, v27
	v_cmp_eq_u32_e64 s[50:51], 0, v0
	s_waitcnt lgkmcnt(0)
	v_add_f32_e32 v26, v26, v27
	v_cndmask_b32_e64 v5, v26, v5, s[50:51]
	ds_write_b32 v31, v5
	; wave barrier
	ds_read2_b32 v[26:27], v31 offset0:1 offset1:2
	ds_read_b32 v28, v31 offset:12
	s_waitcnt lgkmcnt(1)
	v_add_f32_e32 v5, v5, v26
	v_add_f32_e32 v26, v5, v27
	ds_write2_b32 v31, v5, v26 offset0:1 offset1:2
	s_waitcnt lgkmcnt(1)
	v_add_f32_e32 v5, v26, v28
	ds_write_b32 v31, v5 offset:12
.LBB20_50:
	s_or_b64 exec, exec, s[56:57]
	s_load_dwordx2 s[50:51], s[0:1], 0x18
	v_cmp_ne_u32_e64 s[0:1], 0, v0
	v_mov_b32_e32 v26, s58
	s_waitcnt lgkmcnt(0)
	s_barrier
	s_and_saveexec_b64 s[52:53], s[0:1]
	s_cbranch_execz .LBB20_52
; %bb.51:
	v_add_u32_e32 v5, -1, v0
	v_lshrrev_b32_e32 v26, 5, v5
	v_add_lshl_u32 v5, v26, v5, 2
	ds_read_b32 v5, v5
	s_waitcnt lgkmcnt(0)
	v_add_f32_e32 v26, s58, v5
.LBB20_52:
	s_or_b64 exec, exec, s[52:53]
	v_add_f32_e32 v27, v22, v26
	v_add_f32_e32 v28, v23, v27
	;; [unrolled: 1-line block ×22, first 2 shown]
	s_movk_i32 s0, 0xffa4
	v_add_f32_e32 v9, v4, v8
	v_mad_i32_i24 v0, v0, s0, v1
	s_barrier
	ds_write_b128 v1, v[26:29]
	ds_write_b128 v1, v[22:25] offset:16
	ds_write_b128 v1, v[18:21] offset:32
	;; [unrolled: 1-line block ×5, first 2 shown]
	s_waitcnt lgkmcnt(0)
	s_barrier
	ds_read2st64_b32 v[22:23], v0 offset0:4 offset1:8
	ds_read2st64_b32 v[20:21], v0 offset0:12 offset1:20
	;; [unrolled: 1-line block ×10, first 2 shown]
	ds_read_b32 v24, v30 offset:20480
	ds_read2st64_b32 v[0:1], v0 offset0:88 offset1:92
	v_mov_b32_e32 v31, 0
	v_lshl_add_u64 v[2:3], s[50:51], 0, v[30:31]
	s_and_saveexec_b64 s[0:1], vcc
	s_cbranch_execnz .LBB20_77
; %bb.53:
	s_or_b64 exec, exec, s[0:1]
	s_and_saveexec_b64 s[0:1], s[48:49]
	s_cbranch_execnz .LBB20_78
.LBB20_54:
	s_or_b64 exec, exec, s[0:1]
	s_and_saveexec_b64 s[0:1], s[2:3]
	s_cbranch_execnz .LBB20_79
.LBB20_55:
	s_or_b64 exec, exec, s[0:1]
	s_and_saveexec_b64 s[0:1], s[4:5]
	s_cbranch_execnz .LBB20_80
.LBB20_56:
	s_or_b64 exec, exec, s[0:1]
	s_and_saveexec_b64 s[0:1], s[6:7]
	s_cbranch_execnz .LBB20_81
.LBB20_57:
	s_or_b64 exec, exec, s[0:1]
	s_and_saveexec_b64 s[0:1], s[8:9]
	s_cbranch_execnz .LBB20_82
.LBB20_58:
	s_or_b64 exec, exec, s[0:1]
	s_and_saveexec_b64 s[0:1], s[10:11]
	s_cbranch_execnz .LBB20_83
.LBB20_59:
	s_or_b64 exec, exec, s[0:1]
	s_and_saveexec_b64 s[0:1], s[12:13]
	s_cbranch_execnz .LBB20_84
.LBB20_60:
	s_or_b64 exec, exec, s[0:1]
	s_and_saveexec_b64 s[0:1], s[14:15]
	s_cbranch_execnz .LBB20_85
.LBB20_61:
	s_or_b64 exec, exec, s[0:1]
	s_and_saveexec_b64 s[0:1], s[16:17]
	s_cbranch_execnz .LBB20_86
.LBB20_62:
	s_or_b64 exec, exec, s[0:1]
	s_and_saveexec_b64 s[0:1], s[18:19]
	s_cbranch_execnz .LBB20_87
.LBB20_63:
	s_or_b64 exec, exec, s[0:1]
	s_and_saveexec_b64 s[0:1], s[20:21]
	s_cbranch_execnz .LBB20_88
.LBB20_64:
	s_or_b64 exec, exec, s[0:1]
	s_and_saveexec_b64 s[0:1], s[22:23]
	s_cbranch_execnz .LBB20_89
.LBB20_65:
	s_or_b64 exec, exec, s[0:1]
	s_and_saveexec_b64 s[0:1], s[24:25]
	s_cbranch_execnz .LBB20_90
.LBB20_66:
	s_or_b64 exec, exec, s[0:1]
	s_and_saveexec_b64 s[0:1], s[26:27]
	s_cbranch_execnz .LBB20_91
.LBB20_67:
	s_or_b64 exec, exec, s[0:1]
	s_and_saveexec_b64 s[0:1], s[28:29]
	s_cbranch_execnz .LBB20_92
.LBB20_68:
	s_or_b64 exec, exec, s[0:1]
	s_and_saveexec_b64 s[0:1], s[30:31]
	s_cbranch_execnz .LBB20_93
.LBB20_69:
	s_or_b64 exec, exec, s[0:1]
	s_and_saveexec_b64 s[0:1], s[34:35]
	s_cbranch_execnz .LBB20_94
.LBB20_70:
	s_or_b64 exec, exec, s[0:1]
	s_and_saveexec_b64 s[0:1], s[36:37]
	s_cbranch_execnz .LBB20_95
.LBB20_71:
	s_or_b64 exec, exec, s[0:1]
	s_and_saveexec_b64 s[0:1], s[38:39]
	s_cbranch_execnz .LBB20_96
.LBB20_72:
	s_or_b64 exec, exec, s[0:1]
	s_and_saveexec_b64 s[0:1], s[40:41]
	s_cbranch_execnz .LBB20_97
.LBB20_73:
	s_or_b64 exec, exec, s[0:1]
	s_and_saveexec_b64 s[0:1], s[42:43]
	s_cbranch_execnz .LBB20_98
.LBB20_74:
	s_or_b64 exec, exec, s[0:1]
	s_and_saveexec_b64 s[0:1], s[44:45]
	s_cbranch_execnz .LBB20_99
.LBB20_75:
	s_or_b64 exec, exec, s[0:1]
	s_and_saveexec_b64 s[0:1], s[46:47]
	s_cbranch_execnz .LBB20_100
.LBB20_76:
	s_endpgm
.LBB20_77:
	ds_read_b32 v25, v30
	s_waitcnt lgkmcnt(0)
	global_store_dword v[2:3], v25, off
	s_or_b64 exec, exec, s[0:1]
	s_and_saveexec_b64 s[0:1], s[48:49]
	s_cbranch_execz .LBB20_54
.LBB20_78:
	s_waitcnt lgkmcnt(11)
	global_store_dword v[2:3], v22, off offset:1024
	s_or_b64 exec, exec, s[0:1]
	s_and_saveexec_b64 s[0:1], s[2:3]
	s_cbranch_execz .LBB20_55
.LBB20_79:
	s_waitcnt lgkmcnt(11)
	global_store_dword v[2:3], v23, off offset:2048
	s_or_b64 exec, exec, s[0:1]
	s_and_saveexec_b64 s[0:1], s[4:5]
	s_cbranch_execz .LBB20_56
.LBB20_80:
	s_waitcnt lgkmcnt(10)
	global_store_dword v[2:3], v20, off offset:3072
	s_or_b64 exec, exec, s[0:1]
	s_and_saveexec_b64 s[0:1], s[6:7]
	s_cbranch_execz .LBB20_57
.LBB20_81:
	s_waitcnt lgkmcnt(11)
	v_add_co_u32_e32 v22, vcc, 0x1000, v2
	s_nop 1
	v_addc_co_u32_e32 v23, vcc, 0, v3, vcc
	s_waitcnt lgkmcnt(9)
	global_store_dword v[22:23], v16, off
	s_or_b64 exec, exec, s[0:1]
	s_and_saveexec_b64 s[0:1], s[8:9]
	s_cbranch_execz .LBB20_58
.LBB20_82:
	s_waitcnt lgkmcnt(11)
	v_add_co_u32_e32 v22, vcc, 0x1000, v2
	s_nop 1
	v_addc_co_u32_e32 v23, vcc, 0, v3, vcc
	s_waitcnt lgkmcnt(10)
	global_store_dword v[22:23], v21, off offset:1024
	s_or_b64 exec, exec, s[0:1]
	s_and_saveexec_b64 s[0:1], s[10:11]
	s_cbranch_execz .LBB20_59
.LBB20_83:
	s_waitcnt lgkmcnt(10)
	v_add_co_u32_e32 v20, vcc, 0x1000, v2
	s_nop 1
	v_addc_co_u32_e32 v21, vcc, 0, v3, vcc
	s_waitcnt lgkmcnt(8)
	global_store_dword v[20:21], v18, off offset:2048
	s_or_b64 exec, exec, s[0:1]
	s_and_saveexec_b64 s[0:1], s[12:13]
	s_cbranch_execz .LBB20_60
.LBB20_84:
	s_waitcnt lgkmcnt(10)
	v_add_co_u32_e32 v20, vcc, 0x1000, v2
	s_nop 1
	v_addc_co_u32_e32 v21, vcc, 0, v3, vcc
	s_waitcnt lgkmcnt(8)
	global_store_dword v[20:21], v19, off offset:3072
	s_or_b64 exec, exec, s[0:1]
	s_and_saveexec_b64 s[0:1], s[14:15]
	s_cbranch_execz .LBB20_61
.LBB20_85:
	s_waitcnt lgkmcnt(8)
	v_add_co_u32_e32 v18, vcc, 0x2000, v2
	s_nop 1
	v_addc_co_u32_e32 v19, vcc, 0, v3, vcc
	global_store_dword v[18:19], v17, off
	s_or_b64 exec, exec, s[0:1]
	s_and_saveexec_b64 s[0:1], s[16:17]
	s_cbranch_execz .LBB20_62
.LBB20_86:
	s_waitcnt lgkmcnt(9)
	v_add_co_u32_e32 v16, vcc, 0x2000, v2
	s_nop 1
	v_addc_co_u32_e32 v17, vcc, 0, v3, vcc
	s_waitcnt lgkmcnt(7)
	global_store_dword v[16:17], v14, off offset:1024
	s_or_b64 exec, exec, s[0:1]
	s_and_saveexec_b64 s[0:1], s[18:19]
	s_cbranch_execz .LBB20_63
.LBB20_87:
	s_waitcnt lgkmcnt(9)
	v_add_co_u32_e32 v16, vcc, 0x2000, v2
	s_nop 1
	v_addc_co_u32_e32 v17, vcc, 0, v3, vcc
	s_waitcnt lgkmcnt(7)
	global_store_dword v[16:17], v15, off offset:2048
	s_or_b64 exec, exec, s[0:1]
	s_and_saveexec_b64 s[0:1], s[20:21]
	s_cbranch_execz .LBB20_64
.LBB20_88:
	s_waitcnt lgkmcnt(7)
	v_add_co_u32_e32 v14, vcc, 0x2000, v2
	s_nop 1
	v_addc_co_u32_e32 v15, vcc, 0, v3, vcc
	s_waitcnt lgkmcnt(6)
	global_store_dword v[14:15], v12, off offset:3072
	s_or_b64 exec, exec, s[0:1]
	s_and_saveexec_b64 s[0:1], s[22:23]
	s_cbranch_execz .LBB20_65
.LBB20_89:
	s_waitcnt lgkmcnt(7)
	v_add_co_u32_e32 v14, vcc, 0x3000, v2
	s_nop 1
	v_addc_co_u32_e32 v15, vcc, 0, v3, vcc
	s_waitcnt lgkmcnt(5)
	global_store_dword v[14:15], v8, off
	s_or_b64 exec, exec, s[0:1]
	s_and_saveexec_b64 s[0:1], s[24:25]
	s_cbranch_execz .LBB20_66
.LBB20_90:
	s_waitcnt lgkmcnt(7)
	v_add_co_u32_e32 v14, vcc, 0x3000, v2
	s_nop 1
	v_addc_co_u32_e32 v15, vcc, 0, v3, vcc
	s_waitcnt lgkmcnt(6)
	global_store_dword v[14:15], v13, off offset:1024
	s_or_b64 exec, exec, s[0:1]
	s_and_saveexec_b64 s[0:1], s[26:27]
	s_cbranch_execz .LBB20_67
.LBB20_91:
	s_waitcnt lgkmcnt(6)
	v_add_co_u32_e32 v12, vcc, 0x3000, v2
	s_nop 1
	v_addc_co_u32_e32 v13, vcc, 0, v3, vcc
	s_waitcnt lgkmcnt(4)
	global_store_dword v[12:13], v10, off offset:2048
	s_or_b64 exec, exec, s[0:1]
	s_and_saveexec_b64 s[0:1], s[28:29]
	s_cbranch_execz .LBB20_68
.LBB20_92:
	s_waitcnt lgkmcnt(6)
	v_add_co_u32_e32 v12, vcc, 0x3000, v2
	s_nop 1
	v_addc_co_u32_e32 v13, vcc, 0, v3, vcc
	s_waitcnt lgkmcnt(4)
	global_store_dword v[12:13], v11, off offset:3072
	s_or_b64 exec, exec, s[0:1]
	s_and_saveexec_b64 s[0:1], s[30:31]
	s_cbranch_execz .LBB20_69
.LBB20_93:
	s_waitcnt lgkmcnt(4)
	v_add_co_u32_e32 v10, vcc, 0x4000, v2
	s_nop 1
	v_addc_co_u32_e32 v11, vcc, 0, v3, vcc
	global_store_dword v[10:11], v9, off
	s_or_b64 exec, exec, s[0:1]
	s_and_saveexec_b64 s[0:1], s[34:35]
	s_cbranch_execz .LBB20_70
.LBB20_94:
	s_waitcnt lgkmcnt(5)
	v_add_co_u32_e32 v8, vcc, 0x4000, v2
	s_nop 1
	v_addc_co_u32_e32 v9, vcc, 0, v3, vcc
	s_waitcnt lgkmcnt(3)
	global_store_dword v[8:9], v6, off offset:1024
	s_or_b64 exec, exec, s[0:1]
	s_and_saveexec_b64 s[0:1], s[36:37]
	s_cbranch_execz .LBB20_71
.LBB20_95:
	s_waitcnt lgkmcnt(5)
	v_add_co_u32_e32 v8, vcc, 0x4000, v2
	s_nop 1
	v_addc_co_u32_e32 v9, vcc, 0, v3, vcc
	s_waitcnt lgkmcnt(3)
	global_store_dword v[8:9], v7, off offset:2048
	s_or_b64 exec, exec, s[0:1]
	s_and_saveexec_b64 s[0:1], s[38:39]
	s_cbranch_execz .LBB20_72
.LBB20_96:
	s_waitcnt lgkmcnt(3)
	v_add_co_u32_e32 v6, vcc, 0x4000, v2
	s_nop 1
	v_addc_co_u32_e32 v7, vcc, 0, v3, vcc
	s_waitcnt lgkmcnt(2)
	global_store_dword v[6:7], v4, off offset:3072
	s_or_b64 exec, exec, s[0:1]
	s_and_saveexec_b64 s[0:1], s[40:41]
	s_cbranch_execz .LBB20_73
.LBB20_97:
	s_waitcnt lgkmcnt(3)
	v_add_co_u32_e32 v6, vcc, 0x5000, v2
	s_nop 1
	v_addc_co_u32_e32 v7, vcc, 0, v3, vcc
	s_waitcnt lgkmcnt(1)
	global_store_dword v[6:7], v24, off
	s_or_b64 exec, exec, s[0:1]
	s_and_saveexec_b64 s[0:1], s[42:43]
	s_cbranch_execz .LBB20_74
.LBB20_98:
	s_waitcnt lgkmcnt(3)
	v_add_co_u32_e32 v6, vcc, 0x5000, v2
	s_nop 1
	v_addc_co_u32_e32 v7, vcc, 0, v3, vcc
	s_waitcnt lgkmcnt(2)
	global_store_dword v[6:7], v5, off offset:1024
	s_or_b64 exec, exec, s[0:1]
	s_and_saveexec_b64 s[0:1], s[44:45]
	s_cbranch_execz .LBB20_75
.LBB20_99:
	s_waitcnt lgkmcnt(2)
	v_add_co_u32_e32 v4, vcc, 0x5000, v2
	s_nop 1
	v_addc_co_u32_e32 v5, vcc, 0, v3, vcc
	s_waitcnt lgkmcnt(0)
	global_store_dword v[4:5], v0, off offset:2048
	s_or_b64 exec, exec, s[0:1]
	s_and_saveexec_b64 s[0:1], s[46:47]
	s_cbranch_execz .LBB20_76
.LBB20_100:
	v_add_co_u32_e32 v2, vcc, 0x5000, v2
	s_nop 1
	v_addc_co_u32_e32 v3, vcc, 0, v3, vcc
	s_waitcnt lgkmcnt(0)
	global_store_dword v[2:3], v1, off offset:3072
	s_endpgm
	.section	.rodata,"a",@progbits
	.p2align	6, 0x0
	.amdhsa_kernel _ZN7rocprim17ROCPRIM_400000_NS6detail17trampoline_kernelINS0_14default_configENS1_20scan_config_selectorIfEEZZNS1_9scan_implILNS1_25lookback_scan_determinismE0ELb1ELb1ES3_N6thrust23THRUST_200600_302600_NS6detail15normal_iteratorINS9_10device_ptrIKfEEEENSB_INSC_IfEEEEfNS9_4plusIvEEfEEDaPvRmT3_T4_T5_mT6_P12ihipStream_tbENKUlT_T0_E_clISt17integral_constantIbLb0EESX_EEDaSS_ST_EUlSS_E0_NS1_11comp_targetILNS1_3genE5ELNS1_11target_archE942ELNS1_3gpuE9ELNS1_3repE0EEENS1_30default_config_static_selectorELNS0_4arch9wavefront6targetE1EEEvT1_
		.amdhsa_group_segment_fixed_size 24576
		.amdhsa_private_segment_fixed_size 0
		.amdhsa_kernarg_size 32
		.amdhsa_user_sgpr_count 2
		.amdhsa_user_sgpr_dispatch_ptr 0
		.amdhsa_user_sgpr_queue_ptr 0
		.amdhsa_user_sgpr_kernarg_segment_ptr 1
		.amdhsa_user_sgpr_dispatch_id 0
		.amdhsa_user_sgpr_kernarg_preload_length 0
		.amdhsa_user_sgpr_kernarg_preload_offset 0
		.amdhsa_user_sgpr_private_segment_size 0
		.amdhsa_uses_dynamic_stack 0
		.amdhsa_enable_private_segment 0
		.amdhsa_system_sgpr_workgroup_id_x 1
		.amdhsa_system_sgpr_workgroup_id_y 0
		.amdhsa_system_sgpr_workgroup_id_z 0
		.amdhsa_system_sgpr_workgroup_info 0
		.amdhsa_system_vgpr_workitem_id 0
		.amdhsa_next_free_vgpr 34
		.amdhsa_next_free_sgpr 59
		.amdhsa_accum_offset 36
		.amdhsa_reserve_vcc 1
		.amdhsa_float_round_mode_32 0
		.amdhsa_float_round_mode_16_64 0
		.amdhsa_float_denorm_mode_32 3
		.amdhsa_float_denorm_mode_16_64 3
		.amdhsa_dx10_clamp 1
		.amdhsa_ieee_mode 1
		.amdhsa_fp16_overflow 0
		.amdhsa_tg_split 0
		.amdhsa_exception_fp_ieee_invalid_op 0
		.amdhsa_exception_fp_denorm_src 0
		.amdhsa_exception_fp_ieee_div_zero 0
		.amdhsa_exception_fp_ieee_overflow 0
		.amdhsa_exception_fp_ieee_underflow 0
		.amdhsa_exception_fp_ieee_inexact 0
		.amdhsa_exception_int_div_zero 0
	.end_amdhsa_kernel
	.section	.text._ZN7rocprim17ROCPRIM_400000_NS6detail17trampoline_kernelINS0_14default_configENS1_20scan_config_selectorIfEEZZNS1_9scan_implILNS1_25lookback_scan_determinismE0ELb1ELb1ES3_N6thrust23THRUST_200600_302600_NS6detail15normal_iteratorINS9_10device_ptrIKfEEEENSB_INSC_IfEEEEfNS9_4plusIvEEfEEDaPvRmT3_T4_T5_mT6_P12ihipStream_tbENKUlT_T0_E_clISt17integral_constantIbLb0EESX_EEDaSS_ST_EUlSS_E0_NS1_11comp_targetILNS1_3genE5ELNS1_11target_archE942ELNS1_3gpuE9ELNS1_3repE0EEENS1_30default_config_static_selectorELNS0_4arch9wavefront6targetE1EEEvT1_,"axG",@progbits,_ZN7rocprim17ROCPRIM_400000_NS6detail17trampoline_kernelINS0_14default_configENS1_20scan_config_selectorIfEEZZNS1_9scan_implILNS1_25lookback_scan_determinismE0ELb1ELb1ES3_N6thrust23THRUST_200600_302600_NS6detail15normal_iteratorINS9_10device_ptrIKfEEEENSB_INSC_IfEEEEfNS9_4plusIvEEfEEDaPvRmT3_T4_T5_mT6_P12ihipStream_tbENKUlT_T0_E_clISt17integral_constantIbLb0EESX_EEDaSS_ST_EUlSS_E0_NS1_11comp_targetILNS1_3genE5ELNS1_11target_archE942ELNS1_3gpuE9ELNS1_3repE0EEENS1_30default_config_static_selectorELNS0_4arch9wavefront6targetE1EEEvT1_,comdat
.Lfunc_end20:
	.size	_ZN7rocprim17ROCPRIM_400000_NS6detail17trampoline_kernelINS0_14default_configENS1_20scan_config_selectorIfEEZZNS1_9scan_implILNS1_25lookback_scan_determinismE0ELb1ELb1ES3_N6thrust23THRUST_200600_302600_NS6detail15normal_iteratorINS9_10device_ptrIKfEEEENSB_INSC_IfEEEEfNS9_4plusIvEEfEEDaPvRmT3_T4_T5_mT6_P12ihipStream_tbENKUlT_T0_E_clISt17integral_constantIbLb0EESX_EEDaSS_ST_EUlSS_E0_NS1_11comp_targetILNS1_3genE5ELNS1_11target_archE942ELNS1_3gpuE9ELNS1_3repE0EEENS1_30default_config_static_selectorELNS0_4arch9wavefront6targetE1EEEvT1_, .Lfunc_end20-_ZN7rocprim17ROCPRIM_400000_NS6detail17trampoline_kernelINS0_14default_configENS1_20scan_config_selectorIfEEZZNS1_9scan_implILNS1_25lookback_scan_determinismE0ELb1ELb1ES3_N6thrust23THRUST_200600_302600_NS6detail15normal_iteratorINS9_10device_ptrIKfEEEENSB_INSC_IfEEEEfNS9_4plusIvEEfEEDaPvRmT3_T4_T5_mT6_P12ihipStream_tbENKUlT_T0_E_clISt17integral_constantIbLb0EESX_EEDaSS_ST_EUlSS_E0_NS1_11comp_targetILNS1_3genE5ELNS1_11target_archE942ELNS1_3gpuE9ELNS1_3repE0EEENS1_30default_config_static_selectorELNS0_4arch9wavefront6targetE1EEEvT1_
                                        ; -- End function
	.section	.AMDGPU.csdata,"",@progbits
; Kernel info:
; codeLenInByte = 3384
; NumSgprs: 65
; NumVgprs: 34
; NumAgprs: 0
; TotalNumVgprs: 34
; ScratchSize: 0
; MemoryBound: 0
; FloatMode: 240
; IeeeMode: 1
; LDSByteSize: 24576 bytes/workgroup (compile time only)
; SGPRBlocks: 8
; VGPRBlocks: 4
; NumSGPRsForWavesPerEU: 65
; NumVGPRsForWavesPerEU: 34
; AccumOffset: 36
; Occupancy: 2
; WaveLimiterHint : 0
; COMPUTE_PGM_RSRC2:SCRATCH_EN: 0
; COMPUTE_PGM_RSRC2:USER_SGPR: 2
; COMPUTE_PGM_RSRC2:TRAP_HANDLER: 0
; COMPUTE_PGM_RSRC2:TGID_X_EN: 1
; COMPUTE_PGM_RSRC2:TGID_Y_EN: 0
; COMPUTE_PGM_RSRC2:TGID_Z_EN: 0
; COMPUTE_PGM_RSRC2:TIDIG_COMP_CNT: 0
; COMPUTE_PGM_RSRC3_GFX90A:ACCUM_OFFSET: 8
; COMPUTE_PGM_RSRC3_GFX90A:TG_SPLIT: 0
	.section	.text._ZN7rocprim17ROCPRIM_400000_NS6detail17trampoline_kernelINS0_14default_configENS1_20scan_config_selectorIfEEZZNS1_9scan_implILNS1_25lookback_scan_determinismE0ELb1ELb1ES3_N6thrust23THRUST_200600_302600_NS6detail15normal_iteratorINS9_10device_ptrIKfEEEENSB_INSC_IfEEEEfNS9_4plusIvEEfEEDaPvRmT3_T4_T5_mT6_P12ihipStream_tbENKUlT_T0_E_clISt17integral_constantIbLb0EESX_EEDaSS_ST_EUlSS_E0_NS1_11comp_targetILNS1_3genE4ELNS1_11target_archE910ELNS1_3gpuE8ELNS1_3repE0EEENS1_30default_config_static_selectorELNS0_4arch9wavefront6targetE1EEEvT1_,"axG",@progbits,_ZN7rocprim17ROCPRIM_400000_NS6detail17trampoline_kernelINS0_14default_configENS1_20scan_config_selectorIfEEZZNS1_9scan_implILNS1_25lookback_scan_determinismE0ELb1ELb1ES3_N6thrust23THRUST_200600_302600_NS6detail15normal_iteratorINS9_10device_ptrIKfEEEENSB_INSC_IfEEEEfNS9_4plusIvEEfEEDaPvRmT3_T4_T5_mT6_P12ihipStream_tbENKUlT_T0_E_clISt17integral_constantIbLb0EESX_EEDaSS_ST_EUlSS_E0_NS1_11comp_targetILNS1_3genE4ELNS1_11target_archE910ELNS1_3gpuE8ELNS1_3repE0EEENS1_30default_config_static_selectorELNS0_4arch9wavefront6targetE1EEEvT1_,comdat
	.protected	_ZN7rocprim17ROCPRIM_400000_NS6detail17trampoline_kernelINS0_14default_configENS1_20scan_config_selectorIfEEZZNS1_9scan_implILNS1_25lookback_scan_determinismE0ELb1ELb1ES3_N6thrust23THRUST_200600_302600_NS6detail15normal_iteratorINS9_10device_ptrIKfEEEENSB_INSC_IfEEEEfNS9_4plusIvEEfEEDaPvRmT3_T4_T5_mT6_P12ihipStream_tbENKUlT_T0_E_clISt17integral_constantIbLb0EESX_EEDaSS_ST_EUlSS_E0_NS1_11comp_targetILNS1_3genE4ELNS1_11target_archE910ELNS1_3gpuE8ELNS1_3repE0EEENS1_30default_config_static_selectorELNS0_4arch9wavefront6targetE1EEEvT1_ ; -- Begin function _ZN7rocprim17ROCPRIM_400000_NS6detail17trampoline_kernelINS0_14default_configENS1_20scan_config_selectorIfEEZZNS1_9scan_implILNS1_25lookback_scan_determinismE0ELb1ELb1ES3_N6thrust23THRUST_200600_302600_NS6detail15normal_iteratorINS9_10device_ptrIKfEEEENSB_INSC_IfEEEEfNS9_4plusIvEEfEEDaPvRmT3_T4_T5_mT6_P12ihipStream_tbENKUlT_T0_E_clISt17integral_constantIbLb0EESX_EEDaSS_ST_EUlSS_E0_NS1_11comp_targetILNS1_3genE4ELNS1_11target_archE910ELNS1_3gpuE8ELNS1_3repE0EEENS1_30default_config_static_selectorELNS0_4arch9wavefront6targetE1EEEvT1_
	.globl	_ZN7rocprim17ROCPRIM_400000_NS6detail17trampoline_kernelINS0_14default_configENS1_20scan_config_selectorIfEEZZNS1_9scan_implILNS1_25lookback_scan_determinismE0ELb1ELb1ES3_N6thrust23THRUST_200600_302600_NS6detail15normal_iteratorINS9_10device_ptrIKfEEEENSB_INSC_IfEEEEfNS9_4plusIvEEfEEDaPvRmT3_T4_T5_mT6_P12ihipStream_tbENKUlT_T0_E_clISt17integral_constantIbLb0EESX_EEDaSS_ST_EUlSS_E0_NS1_11comp_targetILNS1_3genE4ELNS1_11target_archE910ELNS1_3gpuE8ELNS1_3repE0EEENS1_30default_config_static_selectorELNS0_4arch9wavefront6targetE1EEEvT1_
	.p2align	8
	.type	_ZN7rocprim17ROCPRIM_400000_NS6detail17trampoline_kernelINS0_14default_configENS1_20scan_config_selectorIfEEZZNS1_9scan_implILNS1_25lookback_scan_determinismE0ELb1ELb1ES3_N6thrust23THRUST_200600_302600_NS6detail15normal_iteratorINS9_10device_ptrIKfEEEENSB_INSC_IfEEEEfNS9_4plusIvEEfEEDaPvRmT3_T4_T5_mT6_P12ihipStream_tbENKUlT_T0_E_clISt17integral_constantIbLb0EESX_EEDaSS_ST_EUlSS_E0_NS1_11comp_targetILNS1_3genE4ELNS1_11target_archE910ELNS1_3gpuE8ELNS1_3repE0EEENS1_30default_config_static_selectorELNS0_4arch9wavefront6targetE1EEEvT1_,@function
_ZN7rocprim17ROCPRIM_400000_NS6detail17trampoline_kernelINS0_14default_configENS1_20scan_config_selectorIfEEZZNS1_9scan_implILNS1_25lookback_scan_determinismE0ELb1ELb1ES3_N6thrust23THRUST_200600_302600_NS6detail15normal_iteratorINS9_10device_ptrIKfEEEENSB_INSC_IfEEEEfNS9_4plusIvEEfEEDaPvRmT3_T4_T5_mT6_P12ihipStream_tbENKUlT_T0_E_clISt17integral_constantIbLb0EESX_EEDaSS_ST_EUlSS_E0_NS1_11comp_targetILNS1_3genE4ELNS1_11target_archE910ELNS1_3gpuE8ELNS1_3repE0EEENS1_30default_config_static_selectorELNS0_4arch9wavefront6targetE1EEEvT1_: ; @_ZN7rocprim17ROCPRIM_400000_NS6detail17trampoline_kernelINS0_14default_configENS1_20scan_config_selectorIfEEZZNS1_9scan_implILNS1_25lookback_scan_determinismE0ELb1ELb1ES3_N6thrust23THRUST_200600_302600_NS6detail15normal_iteratorINS9_10device_ptrIKfEEEENSB_INSC_IfEEEEfNS9_4plusIvEEfEEDaPvRmT3_T4_T5_mT6_P12ihipStream_tbENKUlT_T0_E_clISt17integral_constantIbLb0EESX_EEDaSS_ST_EUlSS_E0_NS1_11comp_targetILNS1_3genE4ELNS1_11target_archE910ELNS1_3gpuE8ELNS1_3repE0EEENS1_30default_config_static_selectorELNS0_4arch9wavefront6targetE1EEEvT1_
; %bb.0:
	.section	.rodata,"a",@progbits
	.p2align	6, 0x0
	.amdhsa_kernel _ZN7rocprim17ROCPRIM_400000_NS6detail17trampoline_kernelINS0_14default_configENS1_20scan_config_selectorIfEEZZNS1_9scan_implILNS1_25lookback_scan_determinismE0ELb1ELb1ES3_N6thrust23THRUST_200600_302600_NS6detail15normal_iteratorINS9_10device_ptrIKfEEEENSB_INSC_IfEEEEfNS9_4plusIvEEfEEDaPvRmT3_T4_T5_mT6_P12ihipStream_tbENKUlT_T0_E_clISt17integral_constantIbLb0EESX_EEDaSS_ST_EUlSS_E0_NS1_11comp_targetILNS1_3genE4ELNS1_11target_archE910ELNS1_3gpuE8ELNS1_3repE0EEENS1_30default_config_static_selectorELNS0_4arch9wavefront6targetE1EEEvT1_
		.amdhsa_group_segment_fixed_size 0
		.amdhsa_private_segment_fixed_size 0
		.amdhsa_kernarg_size 32
		.amdhsa_user_sgpr_count 2
		.amdhsa_user_sgpr_dispatch_ptr 0
		.amdhsa_user_sgpr_queue_ptr 0
		.amdhsa_user_sgpr_kernarg_segment_ptr 1
		.amdhsa_user_sgpr_dispatch_id 0
		.amdhsa_user_sgpr_kernarg_preload_length 0
		.amdhsa_user_sgpr_kernarg_preload_offset 0
		.amdhsa_user_sgpr_private_segment_size 0
		.amdhsa_uses_dynamic_stack 0
		.amdhsa_enable_private_segment 0
		.amdhsa_system_sgpr_workgroup_id_x 1
		.amdhsa_system_sgpr_workgroup_id_y 0
		.amdhsa_system_sgpr_workgroup_id_z 0
		.amdhsa_system_sgpr_workgroup_info 0
		.amdhsa_system_vgpr_workitem_id 0
		.amdhsa_next_free_vgpr 1
		.amdhsa_next_free_sgpr 0
		.amdhsa_accum_offset 4
		.amdhsa_reserve_vcc 0
		.amdhsa_float_round_mode_32 0
		.amdhsa_float_round_mode_16_64 0
		.amdhsa_float_denorm_mode_32 3
		.amdhsa_float_denorm_mode_16_64 3
		.amdhsa_dx10_clamp 1
		.amdhsa_ieee_mode 1
		.amdhsa_fp16_overflow 0
		.amdhsa_tg_split 0
		.amdhsa_exception_fp_ieee_invalid_op 0
		.amdhsa_exception_fp_denorm_src 0
		.amdhsa_exception_fp_ieee_div_zero 0
		.amdhsa_exception_fp_ieee_overflow 0
		.amdhsa_exception_fp_ieee_underflow 0
		.amdhsa_exception_fp_ieee_inexact 0
		.amdhsa_exception_int_div_zero 0
	.end_amdhsa_kernel
	.section	.text._ZN7rocprim17ROCPRIM_400000_NS6detail17trampoline_kernelINS0_14default_configENS1_20scan_config_selectorIfEEZZNS1_9scan_implILNS1_25lookback_scan_determinismE0ELb1ELb1ES3_N6thrust23THRUST_200600_302600_NS6detail15normal_iteratorINS9_10device_ptrIKfEEEENSB_INSC_IfEEEEfNS9_4plusIvEEfEEDaPvRmT3_T4_T5_mT6_P12ihipStream_tbENKUlT_T0_E_clISt17integral_constantIbLb0EESX_EEDaSS_ST_EUlSS_E0_NS1_11comp_targetILNS1_3genE4ELNS1_11target_archE910ELNS1_3gpuE8ELNS1_3repE0EEENS1_30default_config_static_selectorELNS0_4arch9wavefront6targetE1EEEvT1_,"axG",@progbits,_ZN7rocprim17ROCPRIM_400000_NS6detail17trampoline_kernelINS0_14default_configENS1_20scan_config_selectorIfEEZZNS1_9scan_implILNS1_25lookback_scan_determinismE0ELb1ELb1ES3_N6thrust23THRUST_200600_302600_NS6detail15normal_iteratorINS9_10device_ptrIKfEEEENSB_INSC_IfEEEEfNS9_4plusIvEEfEEDaPvRmT3_T4_T5_mT6_P12ihipStream_tbENKUlT_T0_E_clISt17integral_constantIbLb0EESX_EEDaSS_ST_EUlSS_E0_NS1_11comp_targetILNS1_3genE4ELNS1_11target_archE910ELNS1_3gpuE8ELNS1_3repE0EEENS1_30default_config_static_selectorELNS0_4arch9wavefront6targetE1EEEvT1_,comdat
.Lfunc_end21:
	.size	_ZN7rocprim17ROCPRIM_400000_NS6detail17trampoline_kernelINS0_14default_configENS1_20scan_config_selectorIfEEZZNS1_9scan_implILNS1_25lookback_scan_determinismE0ELb1ELb1ES3_N6thrust23THRUST_200600_302600_NS6detail15normal_iteratorINS9_10device_ptrIKfEEEENSB_INSC_IfEEEEfNS9_4plusIvEEfEEDaPvRmT3_T4_T5_mT6_P12ihipStream_tbENKUlT_T0_E_clISt17integral_constantIbLb0EESX_EEDaSS_ST_EUlSS_E0_NS1_11comp_targetILNS1_3genE4ELNS1_11target_archE910ELNS1_3gpuE8ELNS1_3repE0EEENS1_30default_config_static_selectorELNS0_4arch9wavefront6targetE1EEEvT1_, .Lfunc_end21-_ZN7rocprim17ROCPRIM_400000_NS6detail17trampoline_kernelINS0_14default_configENS1_20scan_config_selectorIfEEZZNS1_9scan_implILNS1_25lookback_scan_determinismE0ELb1ELb1ES3_N6thrust23THRUST_200600_302600_NS6detail15normal_iteratorINS9_10device_ptrIKfEEEENSB_INSC_IfEEEEfNS9_4plusIvEEfEEDaPvRmT3_T4_T5_mT6_P12ihipStream_tbENKUlT_T0_E_clISt17integral_constantIbLb0EESX_EEDaSS_ST_EUlSS_E0_NS1_11comp_targetILNS1_3genE4ELNS1_11target_archE910ELNS1_3gpuE8ELNS1_3repE0EEENS1_30default_config_static_selectorELNS0_4arch9wavefront6targetE1EEEvT1_
                                        ; -- End function
	.section	.AMDGPU.csdata,"",@progbits
; Kernel info:
; codeLenInByte = 0
; NumSgprs: 6
; NumVgprs: 0
; NumAgprs: 0
; TotalNumVgprs: 0
; ScratchSize: 0
; MemoryBound: 0
; FloatMode: 240
; IeeeMode: 1
; LDSByteSize: 0 bytes/workgroup (compile time only)
; SGPRBlocks: 0
; VGPRBlocks: 0
; NumSGPRsForWavesPerEU: 6
; NumVGPRsForWavesPerEU: 1
; AccumOffset: 4
; Occupancy: 8
; WaveLimiterHint : 0
; COMPUTE_PGM_RSRC2:SCRATCH_EN: 0
; COMPUTE_PGM_RSRC2:USER_SGPR: 2
; COMPUTE_PGM_RSRC2:TRAP_HANDLER: 0
; COMPUTE_PGM_RSRC2:TGID_X_EN: 1
; COMPUTE_PGM_RSRC2:TGID_Y_EN: 0
; COMPUTE_PGM_RSRC2:TGID_Z_EN: 0
; COMPUTE_PGM_RSRC2:TIDIG_COMP_CNT: 0
; COMPUTE_PGM_RSRC3_GFX90A:ACCUM_OFFSET: 0
; COMPUTE_PGM_RSRC3_GFX90A:TG_SPLIT: 0
	.section	.text._ZN7rocprim17ROCPRIM_400000_NS6detail17trampoline_kernelINS0_14default_configENS1_20scan_config_selectorIfEEZZNS1_9scan_implILNS1_25lookback_scan_determinismE0ELb1ELb1ES3_N6thrust23THRUST_200600_302600_NS6detail15normal_iteratorINS9_10device_ptrIKfEEEENSB_INSC_IfEEEEfNS9_4plusIvEEfEEDaPvRmT3_T4_T5_mT6_P12ihipStream_tbENKUlT_T0_E_clISt17integral_constantIbLb0EESX_EEDaSS_ST_EUlSS_E0_NS1_11comp_targetILNS1_3genE3ELNS1_11target_archE908ELNS1_3gpuE7ELNS1_3repE0EEENS1_30default_config_static_selectorELNS0_4arch9wavefront6targetE1EEEvT1_,"axG",@progbits,_ZN7rocprim17ROCPRIM_400000_NS6detail17trampoline_kernelINS0_14default_configENS1_20scan_config_selectorIfEEZZNS1_9scan_implILNS1_25lookback_scan_determinismE0ELb1ELb1ES3_N6thrust23THRUST_200600_302600_NS6detail15normal_iteratorINS9_10device_ptrIKfEEEENSB_INSC_IfEEEEfNS9_4plusIvEEfEEDaPvRmT3_T4_T5_mT6_P12ihipStream_tbENKUlT_T0_E_clISt17integral_constantIbLb0EESX_EEDaSS_ST_EUlSS_E0_NS1_11comp_targetILNS1_3genE3ELNS1_11target_archE908ELNS1_3gpuE7ELNS1_3repE0EEENS1_30default_config_static_selectorELNS0_4arch9wavefront6targetE1EEEvT1_,comdat
	.protected	_ZN7rocprim17ROCPRIM_400000_NS6detail17trampoline_kernelINS0_14default_configENS1_20scan_config_selectorIfEEZZNS1_9scan_implILNS1_25lookback_scan_determinismE0ELb1ELb1ES3_N6thrust23THRUST_200600_302600_NS6detail15normal_iteratorINS9_10device_ptrIKfEEEENSB_INSC_IfEEEEfNS9_4plusIvEEfEEDaPvRmT3_T4_T5_mT6_P12ihipStream_tbENKUlT_T0_E_clISt17integral_constantIbLb0EESX_EEDaSS_ST_EUlSS_E0_NS1_11comp_targetILNS1_3genE3ELNS1_11target_archE908ELNS1_3gpuE7ELNS1_3repE0EEENS1_30default_config_static_selectorELNS0_4arch9wavefront6targetE1EEEvT1_ ; -- Begin function _ZN7rocprim17ROCPRIM_400000_NS6detail17trampoline_kernelINS0_14default_configENS1_20scan_config_selectorIfEEZZNS1_9scan_implILNS1_25lookback_scan_determinismE0ELb1ELb1ES3_N6thrust23THRUST_200600_302600_NS6detail15normal_iteratorINS9_10device_ptrIKfEEEENSB_INSC_IfEEEEfNS9_4plusIvEEfEEDaPvRmT3_T4_T5_mT6_P12ihipStream_tbENKUlT_T0_E_clISt17integral_constantIbLb0EESX_EEDaSS_ST_EUlSS_E0_NS1_11comp_targetILNS1_3genE3ELNS1_11target_archE908ELNS1_3gpuE7ELNS1_3repE0EEENS1_30default_config_static_selectorELNS0_4arch9wavefront6targetE1EEEvT1_
	.globl	_ZN7rocprim17ROCPRIM_400000_NS6detail17trampoline_kernelINS0_14default_configENS1_20scan_config_selectorIfEEZZNS1_9scan_implILNS1_25lookback_scan_determinismE0ELb1ELb1ES3_N6thrust23THRUST_200600_302600_NS6detail15normal_iteratorINS9_10device_ptrIKfEEEENSB_INSC_IfEEEEfNS9_4plusIvEEfEEDaPvRmT3_T4_T5_mT6_P12ihipStream_tbENKUlT_T0_E_clISt17integral_constantIbLb0EESX_EEDaSS_ST_EUlSS_E0_NS1_11comp_targetILNS1_3genE3ELNS1_11target_archE908ELNS1_3gpuE7ELNS1_3repE0EEENS1_30default_config_static_selectorELNS0_4arch9wavefront6targetE1EEEvT1_
	.p2align	8
	.type	_ZN7rocprim17ROCPRIM_400000_NS6detail17trampoline_kernelINS0_14default_configENS1_20scan_config_selectorIfEEZZNS1_9scan_implILNS1_25lookback_scan_determinismE0ELb1ELb1ES3_N6thrust23THRUST_200600_302600_NS6detail15normal_iteratorINS9_10device_ptrIKfEEEENSB_INSC_IfEEEEfNS9_4plusIvEEfEEDaPvRmT3_T4_T5_mT6_P12ihipStream_tbENKUlT_T0_E_clISt17integral_constantIbLb0EESX_EEDaSS_ST_EUlSS_E0_NS1_11comp_targetILNS1_3genE3ELNS1_11target_archE908ELNS1_3gpuE7ELNS1_3repE0EEENS1_30default_config_static_selectorELNS0_4arch9wavefront6targetE1EEEvT1_,@function
_ZN7rocprim17ROCPRIM_400000_NS6detail17trampoline_kernelINS0_14default_configENS1_20scan_config_selectorIfEEZZNS1_9scan_implILNS1_25lookback_scan_determinismE0ELb1ELb1ES3_N6thrust23THRUST_200600_302600_NS6detail15normal_iteratorINS9_10device_ptrIKfEEEENSB_INSC_IfEEEEfNS9_4plusIvEEfEEDaPvRmT3_T4_T5_mT6_P12ihipStream_tbENKUlT_T0_E_clISt17integral_constantIbLb0EESX_EEDaSS_ST_EUlSS_E0_NS1_11comp_targetILNS1_3genE3ELNS1_11target_archE908ELNS1_3gpuE7ELNS1_3repE0EEENS1_30default_config_static_selectorELNS0_4arch9wavefront6targetE1EEEvT1_: ; @_ZN7rocprim17ROCPRIM_400000_NS6detail17trampoline_kernelINS0_14default_configENS1_20scan_config_selectorIfEEZZNS1_9scan_implILNS1_25lookback_scan_determinismE0ELb1ELb1ES3_N6thrust23THRUST_200600_302600_NS6detail15normal_iteratorINS9_10device_ptrIKfEEEENSB_INSC_IfEEEEfNS9_4plusIvEEfEEDaPvRmT3_T4_T5_mT6_P12ihipStream_tbENKUlT_T0_E_clISt17integral_constantIbLb0EESX_EEDaSS_ST_EUlSS_E0_NS1_11comp_targetILNS1_3genE3ELNS1_11target_archE908ELNS1_3gpuE7ELNS1_3repE0EEENS1_30default_config_static_selectorELNS0_4arch9wavefront6targetE1EEEvT1_
; %bb.0:
	.section	.rodata,"a",@progbits
	.p2align	6, 0x0
	.amdhsa_kernel _ZN7rocprim17ROCPRIM_400000_NS6detail17trampoline_kernelINS0_14default_configENS1_20scan_config_selectorIfEEZZNS1_9scan_implILNS1_25lookback_scan_determinismE0ELb1ELb1ES3_N6thrust23THRUST_200600_302600_NS6detail15normal_iteratorINS9_10device_ptrIKfEEEENSB_INSC_IfEEEEfNS9_4plusIvEEfEEDaPvRmT3_T4_T5_mT6_P12ihipStream_tbENKUlT_T0_E_clISt17integral_constantIbLb0EESX_EEDaSS_ST_EUlSS_E0_NS1_11comp_targetILNS1_3genE3ELNS1_11target_archE908ELNS1_3gpuE7ELNS1_3repE0EEENS1_30default_config_static_selectorELNS0_4arch9wavefront6targetE1EEEvT1_
		.amdhsa_group_segment_fixed_size 0
		.amdhsa_private_segment_fixed_size 0
		.amdhsa_kernarg_size 32
		.amdhsa_user_sgpr_count 2
		.amdhsa_user_sgpr_dispatch_ptr 0
		.amdhsa_user_sgpr_queue_ptr 0
		.amdhsa_user_sgpr_kernarg_segment_ptr 1
		.amdhsa_user_sgpr_dispatch_id 0
		.amdhsa_user_sgpr_kernarg_preload_length 0
		.amdhsa_user_sgpr_kernarg_preload_offset 0
		.amdhsa_user_sgpr_private_segment_size 0
		.amdhsa_uses_dynamic_stack 0
		.amdhsa_enable_private_segment 0
		.amdhsa_system_sgpr_workgroup_id_x 1
		.amdhsa_system_sgpr_workgroup_id_y 0
		.amdhsa_system_sgpr_workgroup_id_z 0
		.amdhsa_system_sgpr_workgroup_info 0
		.amdhsa_system_vgpr_workitem_id 0
		.amdhsa_next_free_vgpr 1
		.amdhsa_next_free_sgpr 0
		.amdhsa_accum_offset 4
		.amdhsa_reserve_vcc 0
		.amdhsa_float_round_mode_32 0
		.amdhsa_float_round_mode_16_64 0
		.amdhsa_float_denorm_mode_32 3
		.amdhsa_float_denorm_mode_16_64 3
		.amdhsa_dx10_clamp 1
		.amdhsa_ieee_mode 1
		.amdhsa_fp16_overflow 0
		.amdhsa_tg_split 0
		.amdhsa_exception_fp_ieee_invalid_op 0
		.amdhsa_exception_fp_denorm_src 0
		.amdhsa_exception_fp_ieee_div_zero 0
		.amdhsa_exception_fp_ieee_overflow 0
		.amdhsa_exception_fp_ieee_underflow 0
		.amdhsa_exception_fp_ieee_inexact 0
		.amdhsa_exception_int_div_zero 0
	.end_amdhsa_kernel
	.section	.text._ZN7rocprim17ROCPRIM_400000_NS6detail17trampoline_kernelINS0_14default_configENS1_20scan_config_selectorIfEEZZNS1_9scan_implILNS1_25lookback_scan_determinismE0ELb1ELb1ES3_N6thrust23THRUST_200600_302600_NS6detail15normal_iteratorINS9_10device_ptrIKfEEEENSB_INSC_IfEEEEfNS9_4plusIvEEfEEDaPvRmT3_T4_T5_mT6_P12ihipStream_tbENKUlT_T0_E_clISt17integral_constantIbLb0EESX_EEDaSS_ST_EUlSS_E0_NS1_11comp_targetILNS1_3genE3ELNS1_11target_archE908ELNS1_3gpuE7ELNS1_3repE0EEENS1_30default_config_static_selectorELNS0_4arch9wavefront6targetE1EEEvT1_,"axG",@progbits,_ZN7rocprim17ROCPRIM_400000_NS6detail17trampoline_kernelINS0_14default_configENS1_20scan_config_selectorIfEEZZNS1_9scan_implILNS1_25lookback_scan_determinismE0ELb1ELb1ES3_N6thrust23THRUST_200600_302600_NS6detail15normal_iteratorINS9_10device_ptrIKfEEEENSB_INSC_IfEEEEfNS9_4plusIvEEfEEDaPvRmT3_T4_T5_mT6_P12ihipStream_tbENKUlT_T0_E_clISt17integral_constantIbLb0EESX_EEDaSS_ST_EUlSS_E0_NS1_11comp_targetILNS1_3genE3ELNS1_11target_archE908ELNS1_3gpuE7ELNS1_3repE0EEENS1_30default_config_static_selectorELNS0_4arch9wavefront6targetE1EEEvT1_,comdat
.Lfunc_end22:
	.size	_ZN7rocprim17ROCPRIM_400000_NS6detail17trampoline_kernelINS0_14default_configENS1_20scan_config_selectorIfEEZZNS1_9scan_implILNS1_25lookback_scan_determinismE0ELb1ELb1ES3_N6thrust23THRUST_200600_302600_NS6detail15normal_iteratorINS9_10device_ptrIKfEEEENSB_INSC_IfEEEEfNS9_4plusIvEEfEEDaPvRmT3_T4_T5_mT6_P12ihipStream_tbENKUlT_T0_E_clISt17integral_constantIbLb0EESX_EEDaSS_ST_EUlSS_E0_NS1_11comp_targetILNS1_3genE3ELNS1_11target_archE908ELNS1_3gpuE7ELNS1_3repE0EEENS1_30default_config_static_selectorELNS0_4arch9wavefront6targetE1EEEvT1_, .Lfunc_end22-_ZN7rocprim17ROCPRIM_400000_NS6detail17trampoline_kernelINS0_14default_configENS1_20scan_config_selectorIfEEZZNS1_9scan_implILNS1_25lookback_scan_determinismE0ELb1ELb1ES3_N6thrust23THRUST_200600_302600_NS6detail15normal_iteratorINS9_10device_ptrIKfEEEENSB_INSC_IfEEEEfNS9_4plusIvEEfEEDaPvRmT3_T4_T5_mT6_P12ihipStream_tbENKUlT_T0_E_clISt17integral_constantIbLb0EESX_EEDaSS_ST_EUlSS_E0_NS1_11comp_targetILNS1_3genE3ELNS1_11target_archE908ELNS1_3gpuE7ELNS1_3repE0EEENS1_30default_config_static_selectorELNS0_4arch9wavefront6targetE1EEEvT1_
                                        ; -- End function
	.section	.AMDGPU.csdata,"",@progbits
; Kernel info:
; codeLenInByte = 0
; NumSgprs: 6
; NumVgprs: 0
; NumAgprs: 0
; TotalNumVgprs: 0
; ScratchSize: 0
; MemoryBound: 0
; FloatMode: 240
; IeeeMode: 1
; LDSByteSize: 0 bytes/workgroup (compile time only)
; SGPRBlocks: 0
; VGPRBlocks: 0
; NumSGPRsForWavesPerEU: 6
; NumVGPRsForWavesPerEU: 1
; AccumOffset: 4
; Occupancy: 8
; WaveLimiterHint : 0
; COMPUTE_PGM_RSRC2:SCRATCH_EN: 0
; COMPUTE_PGM_RSRC2:USER_SGPR: 2
; COMPUTE_PGM_RSRC2:TRAP_HANDLER: 0
; COMPUTE_PGM_RSRC2:TGID_X_EN: 1
; COMPUTE_PGM_RSRC2:TGID_Y_EN: 0
; COMPUTE_PGM_RSRC2:TGID_Z_EN: 0
; COMPUTE_PGM_RSRC2:TIDIG_COMP_CNT: 0
; COMPUTE_PGM_RSRC3_GFX90A:ACCUM_OFFSET: 0
; COMPUTE_PGM_RSRC3_GFX90A:TG_SPLIT: 0
	.section	.text._ZN7rocprim17ROCPRIM_400000_NS6detail17trampoline_kernelINS0_14default_configENS1_20scan_config_selectorIfEEZZNS1_9scan_implILNS1_25lookback_scan_determinismE0ELb1ELb1ES3_N6thrust23THRUST_200600_302600_NS6detail15normal_iteratorINS9_10device_ptrIKfEEEENSB_INSC_IfEEEEfNS9_4plusIvEEfEEDaPvRmT3_T4_T5_mT6_P12ihipStream_tbENKUlT_T0_E_clISt17integral_constantIbLb0EESX_EEDaSS_ST_EUlSS_E0_NS1_11comp_targetILNS1_3genE2ELNS1_11target_archE906ELNS1_3gpuE6ELNS1_3repE0EEENS1_30default_config_static_selectorELNS0_4arch9wavefront6targetE1EEEvT1_,"axG",@progbits,_ZN7rocprim17ROCPRIM_400000_NS6detail17trampoline_kernelINS0_14default_configENS1_20scan_config_selectorIfEEZZNS1_9scan_implILNS1_25lookback_scan_determinismE0ELb1ELb1ES3_N6thrust23THRUST_200600_302600_NS6detail15normal_iteratorINS9_10device_ptrIKfEEEENSB_INSC_IfEEEEfNS9_4plusIvEEfEEDaPvRmT3_T4_T5_mT6_P12ihipStream_tbENKUlT_T0_E_clISt17integral_constantIbLb0EESX_EEDaSS_ST_EUlSS_E0_NS1_11comp_targetILNS1_3genE2ELNS1_11target_archE906ELNS1_3gpuE6ELNS1_3repE0EEENS1_30default_config_static_selectorELNS0_4arch9wavefront6targetE1EEEvT1_,comdat
	.protected	_ZN7rocprim17ROCPRIM_400000_NS6detail17trampoline_kernelINS0_14default_configENS1_20scan_config_selectorIfEEZZNS1_9scan_implILNS1_25lookback_scan_determinismE0ELb1ELb1ES3_N6thrust23THRUST_200600_302600_NS6detail15normal_iteratorINS9_10device_ptrIKfEEEENSB_INSC_IfEEEEfNS9_4plusIvEEfEEDaPvRmT3_T4_T5_mT6_P12ihipStream_tbENKUlT_T0_E_clISt17integral_constantIbLb0EESX_EEDaSS_ST_EUlSS_E0_NS1_11comp_targetILNS1_3genE2ELNS1_11target_archE906ELNS1_3gpuE6ELNS1_3repE0EEENS1_30default_config_static_selectorELNS0_4arch9wavefront6targetE1EEEvT1_ ; -- Begin function _ZN7rocprim17ROCPRIM_400000_NS6detail17trampoline_kernelINS0_14default_configENS1_20scan_config_selectorIfEEZZNS1_9scan_implILNS1_25lookback_scan_determinismE0ELb1ELb1ES3_N6thrust23THRUST_200600_302600_NS6detail15normal_iteratorINS9_10device_ptrIKfEEEENSB_INSC_IfEEEEfNS9_4plusIvEEfEEDaPvRmT3_T4_T5_mT6_P12ihipStream_tbENKUlT_T0_E_clISt17integral_constantIbLb0EESX_EEDaSS_ST_EUlSS_E0_NS1_11comp_targetILNS1_3genE2ELNS1_11target_archE906ELNS1_3gpuE6ELNS1_3repE0EEENS1_30default_config_static_selectorELNS0_4arch9wavefront6targetE1EEEvT1_
	.globl	_ZN7rocprim17ROCPRIM_400000_NS6detail17trampoline_kernelINS0_14default_configENS1_20scan_config_selectorIfEEZZNS1_9scan_implILNS1_25lookback_scan_determinismE0ELb1ELb1ES3_N6thrust23THRUST_200600_302600_NS6detail15normal_iteratorINS9_10device_ptrIKfEEEENSB_INSC_IfEEEEfNS9_4plusIvEEfEEDaPvRmT3_T4_T5_mT6_P12ihipStream_tbENKUlT_T0_E_clISt17integral_constantIbLb0EESX_EEDaSS_ST_EUlSS_E0_NS1_11comp_targetILNS1_3genE2ELNS1_11target_archE906ELNS1_3gpuE6ELNS1_3repE0EEENS1_30default_config_static_selectorELNS0_4arch9wavefront6targetE1EEEvT1_
	.p2align	8
	.type	_ZN7rocprim17ROCPRIM_400000_NS6detail17trampoline_kernelINS0_14default_configENS1_20scan_config_selectorIfEEZZNS1_9scan_implILNS1_25lookback_scan_determinismE0ELb1ELb1ES3_N6thrust23THRUST_200600_302600_NS6detail15normal_iteratorINS9_10device_ptrIKfEEEENSB_INSC_IfEEEEfNS9_4plusIvEEfEEDaPvRmT3_T4_T5_mT6_P12ihipStream_tbENKUlT_T0_E_clISt17integral_constantIbLb0EESX_EEDaSS_ST_EUlSS_E0_NS1_11comp_targetILNS1_3genE2ELNS1_11target_archE906ELNS1_3gpuE6ELNS1_3repE0EEENS1_30default_config_static_selectorELNS0_4arch9wavefront6targetE1EEEvT1_,@function
_ZN7rocprim17ROCPRIM_400000_NS6detail17trampoline_kernelINS0_14default_configENS1_20scan_config_selectorIfEEZZNS1_9scan_implILNS1_25lookback_scan_determinismE0ELb1ELb1ES3_N6thrust23THRUST_200600_302600_NS6detail15normal_iteratorINS9_10device_ptrIKfEEEENSB_INSC_IfEEEEfNS9_4plusIvEEfEEDaPvRmT3_T4_T5_mT6_P12ihipStream_tbENKUlT_T0_E_clISt17integral_constantIbLb0EESX_EEDaSS_ST_EUlSS_E0_NS1_11comp_targetILNS1_3genE2ELNS1_11target_archE906ELNS1_3gpuE6ELNS1_3repE0EEENS1_30default_config_static_selectorELNS0_4arch9wavefront6targetE1EEEvT1_: ; @_ZN7rocprim17ROCPRIM_400000_NS6detail17trampoline_kernelINS0_14default_configENS1_20scan_config_selectorIfEEZZNS1_9scan_implILNS1_25lookback_scan_determinismE0ELb1ELb1ES3_N6thrust23THRUST_200600_302600_NS6detail15normal_iteratorINS9_10device_ptrIKfEEEENSB_INSC_IfEEEEfNS9_4plusIvEEfEEDaPvRmT3_T4_T5_mT6_P12ihipStream_tbENKUlT_T0_E_clISt17integral_constantIbLb0EESX_EEDaSS_ST_EUlSS_E0_NS1_11comp_targetILNS1_3genE2ELNS1_11target_archE906ELNS1_3gpuE6ELNS1_3repE0EEENS1_30default_config_static_selectorELNS0_4arch9wavefront6targetE1EEEvT1_
; %bb.0:
	.section	.rodata,"a",@progbits
	.p2align	6, 0x0
	.amdhsa_kernel _ZN7rocprim17ROCPRIM_400000_NS6detail17trampoline_kernelINS0_14default_configENS1_20scan_config_selectorIfEEZZNS1_9scan_implILNS1_25lookback_scan_determinismE0ELb1ELb1ES3_N6thrust23THRUST_200600_302600_NS6detail15normal_iteratorINS9_10device_ptrIKfEEEENSB_INSC_IfEEEEfNS9_4plusIvEEfEEDaPvRmT3_T4_T5_mT6_P12ihipStream_tbENKUlT_T0_E_clISt17integral_constantIbLb0EESX_EEDaSS_ST_EUlSS_E0_NS1_11comp_targetILNS1_3genE2ELNS1_11target_archE906ELNS1_3gpuE6ELNS1_3repE0EEENS1_30default_config_static_selectorELNS0_4arch9wavefront6targetE1EEEvT1_
		.amdhsa_group_segment_fixed_size 0
		.amdhsa_private_segment_fixed_size 0
		.amdhsa_kernarg_size 32
		.amdhsa_user_sgpr_count 2
		.amdhsa_user_sgpr_dispatch_ptr 0
		.amdhsa_user_sgpr_queue_ptr 0
		.amdhsa_user_sgpr_kernarg_segment_ptr 1
		.amdhsa_user_sgpr_dispatch_id 0
		.amdhsa_user_sgpr_kernarg_preload_length 0
		.amdhsa_user_sgpr_kernarg_preload_offset 0
		.amdhsa_user_sgpr_private_segment_size 0
		.amdhsa_uses_dynamic_stack 0
		.amdhsa_enable_private_segment 0
		.amdhsa_system_sgpr_workgroup_id_x 1
		.amdhsa_system_sgpr_workgroup_id_y 0
		.amdhsa_system_sgpr_workgroup_id_z 0
		.amdhsa_system_sgpr_workgroup_info 0
		.amdhsa_system_vgpr_workitem_id 0
		.amdhsa_next_free_vgpr 1
		.amdhsa_next_free_sgpr 0
		.amdhsa_accum_offset 4
		.amdhsa_reserve_vcc 0
		.amdhsa_float_round_mode_32 0
		.amdhsa_float_round_mode_16_64 0
		.amdhsa_float_denorm_mode_32 3
		.amdhsa_float_denorm_mode_16_64 3
		.amdhsa_dx10_clamp 1
		.amdhsa_ieee_mode 1
		.amdhsa_fp16_overflow 0
		.amdhsa_tg_split 0
		.amdhsa_exception_fp_ieee_invalid_op 0
		.amdhsa_exception_fp_denorm_src 0
		.amdhsa_exception_fp_ieee_div_zero 0
		.amdhsa_exception_fp_ieee_overflow 0
		.amdhsa_exception_fp_ieee_underflow 0
		.amdhsa_exception_fp_ieee_inexact 0
		.amdhsa_exception_int_div_zero 0
	.end_amdhsa_kernel
	.section	.text._ZN7rocprim17ROCPRIM_400000_NS6detail17trampoline_kernelINS0_14default_configENS1_20scan_config_selectorIfEEZZNS1_9scan_implILNS1_25lookback_scan_determinismE0ELb1ELb1ES3_N6thrust23THRUST_200600_302600_NS6detail15normal_iteratorINS9_10device_ptrIKfEEEENSB_INSC_IfEEEEfNS9_4plusIvEEfEEDaPvRmT3_T4_T5_mT6_P12ihipStream_tbENKUlT_T0_E_clISt17integral_constantIbLb0EESX_EEDaSS_ST_EUlSS_E0_NS1_11comp_targetILNS1_3genE2ELNS1_11target_archE906ELNS1_3gpuE6ELNS1_3repE0EEENS1_30default_config_static_selectorELNS0_4arch9wavefront6targetE1EEEvT1_,"axG",@progbits,_ZN7rocprim17ROCPRIM_400000_NS6detail17trampoline_kernelINS0_14default_configENS1_20scan_config_selectorIfEEZZNS1_9scan_implILNS1_25lookback_scan_determinismE0ELb1ELb1ES3_N6thrust23THRUST_200600_302600_NS6detail15normal_iteratorINS9_10device_ptrIKfEEEENSB_INSC_IfEEEEfNS9_4plusIvEEfEEDaPvRmT3_T4_T5_mT6_P12ihipStream_tbENKUlT_T0_E_clISt17integral_constantIbLb0EESX_EEDaSS_ST_EUlSS_E0_NS1_11comp_targetILNS1_3genE2ELNS1_11target_archE906ELNS1_3gpuE6ELNS1_3repE0EEENS1_30default_config_static_selectorELNS0_4arch9wavefront6targetE1EEEvT1_,comdat
.Lfunc_end23:
	.size	_ZN7rocprim17ROCPRIM_400000_NS6detail17trampoline_kernelINS0_14default_configENS1_20scan_config_selectorIfEEZZNS1_9scan_implILNS1_25lookback_scan_determinismE0ELb1ELb1ES3_N6thrust23THRUST_200600_302600_NS6detail15normal_iteratorINS9_10device_ptrIKfEEEENSB_INSC_IfEEEEfNS9_4plusIvEEfEEDaPvRmT3_T4_T5_mT6_P12ihipStream_tbENKUlT_T0_E_clISt17integral_constantIbLb0EESX_EEDaSS_ST_EUlSS_E0_NS1_11comp_targetILNS1_3genE2ELNS1_11target_archE906ELNS1_3gpuE6ELNS1_3repE0EEENS1_30default_config_static_selectorELNS0_4arch9wavefront6targetE1EEEvT1_, .Lfunc_end23-_ZN7rocprim17ROCPRIM_400000_NS6detail17trampoline_kernelINS0_14default_configENS1_20scan_config_selectorIfEEZZNS1_9scan_implILNS1_25lookback_scan_determinismE0ELb1ELb1ES3_N6thrust23THRUST_200600_302600_NS6detail15normal_iteratorINS9_10device_ptrIKfEEEENSB_INSC_IfEEEEfNS9_4plusIvEEfEEDaPvRmT3_T4_T5_mT6_P12ihipStream_tbENKUlT_T0_E_clISt17integral_constantIbLb0EESX_EEDaSS_ST_EUlSS_E0_NS1_11comp_targetILNS1_3genE2ELNS1_11target_archE906ELNS1_3gpuE6ELNS1_3repE0EEENS1_30default_config_static_selectorELNS0_4arch9wavefront6targetE1EEEvT1_
                                        ; -- End function
	.section	.AMDGPU.csdata,"",@progbits
; Kernel info:
; codeLenInByte = 0
; NumSgprs: 6
; NumVgprs: 0
; NumAgprs: 0
; TotalNumVgprs: 0
; ScratchSize: 0
; MemoryBound: 0
; FloatMode: 240
; IeeeMode: 1
; LDSByteSize: 0 bytes/workgroup (compile time only)
; SGPRBlocks: 0
; VGPRBlocks: 0
; NumSGPRsForWavesPerEU: 6
; NumVGPRsForWavesPerEU: 1
; AccumOffset: 4
; Occupancy: 8
; WaveLimiterHint : 0
; COMPUTE_PGM_RSRC2:SCRATCH_EN: 0
; COMPUTE_PGM_RSRC2:USER_SGPR: 2
; COMPUTE_PGM_RSRC2:TRAP_HANDLER: 0
; COMPUTE_PGM_RSRC2:TGID_X_EN: 1
; COMPUTE_PGM_RSRC2:TGID_Y_EN: 0
; COMPUTE_PGM_RSRC2:TGID_Z_EN: 0
; COMPUTE_PGM_RSRC2:TIDIG_COMP_CNT: 0
; COMPUTE_PGM_RSRC3_GFX90A:ACCUM_OFFSET: 0
; COMPUTE_PGM_RSRC3_GFX90A:TG_SPLIT: 0
	.section	.text._ZN7rocprim17ROCPRIM_400000_NS6detail17trampoline_kernelINS0_14default_configENS1_20scan_config_selectorIfEEZZNS1_9scan_implILNS1_25lookback_scan_determinismE0ELb1ELb1ES3_N6thrust23THRUST_200600_302600_NS6detail15normal_iteratorINS9_10device_ptrIKfEEEENSB_INSC_IfEEEEfNS9_4plusIvEEfEEDaPvRmT3_T4_T5_mT6_P12ihipStream_tbENKUlT_T0_E_clISt17integral_constantIbLb0EESX_EEDaSS_ST_EUlSS_E0_NS1_11comp_targetILNS1_3genE10ELNS1_11target_archE1201ELNS1_3gpuE5ELNS1_3repE0EEENS1_30default_config_static_selectorELNS0_4arch9wavefront6targetE1EEEvT1_,"axG",@progbits,_ZN7rocprim17ROCPRIM_400000_NS6detail17trampoline_kernelINS0_14default_configENS1_20scan_config_selectorIfEEZZNS1_9scan_implILNS1_25lookback_scan_determinismE0ELb1ELb1ES3_N6thrust23THRUST_200600_302600_NS6detail15normal_iteratorINS9_10device_ptrIKfEEEENSB_INSC_IfEEEEfNS9_4plusIvEEfEEDaPvRmT3_T4_T5_mT6_P12ihipStream_tbENKUlT_T0_E_clISt17integral_constantIbLb0EESX_EEDaSS_ST_EUlSS_E0_NS1_11comp_targetILNS1_3genE10ELNS1_11target_archE1201ELNS1_3gpuE5ELNS1_3repE0EEENS1_30default_config_static_selectorELNS0_4arch9wavefront6targetE1EEEvT1_,comdat
	.protected	_ZN7rocprim17ROCPRIM_400000_NS6detail17trampoline_kernelINS0_14default_configENS1_20scan_config_selectorIfEEZZNS1_9scan_implILNS1_25lookback_scan_determinismE0ELb1ELb1ES3_N6thrust23THRUST_200600_302600_NS6detail15normal_iteratorINS9_10device_ptrIKfEEEENSB_INSC_IfEEEEfNS9_4plusIvEEfEEDaPvRmT3_T4_T5_mT6_P12ihipStream_tbENKUlT_T0_E_clISt17integral_constantIbLb0EESX_EEDaSS_ST_EUlSS_E0_NS1_11comp_targetILNS1_3genE10ELNS1_11target_archE1201ELNS1_3gpuE5ELNS1_3repE0EEENS1_30default_config_static_selectorELNS0_4arch9wavefront6targetE1EEEvT1_ ; -- Begin function _ZN7rocprim17ROCPRIM_400000_NS6detail17trampoline_kernelINS0_14default_configENS1_20scan_config_selectorIfEEZZNS1_9scan_implILNS1_25lookback_scan_determinismE0ELb1ELb1ES3_N6thrust23THRUST_200600_302600_NS6detail15normal_iteratorINS9_10device_ptrIKfEEEENSB_INSC_IfEEEEfNS9_4plusIvEEfEEDaPvRmT3_T4_T5_mT6_P12ihipStream_tbENKUlT_T0_E_clISt17integral_constantIbLb0EESX_EEDaSS_ST_EUlSS_E0_NS1_11comp_targetILNS1_3genE10ELNS1_11target_archE1201ELNS1_3gpuE5ELNS1_3repE0EEENS1_30default_config_static_selectorELNS0_4arch9wavefront6targetE1EEEvT1_
	.globl	_ZN7rocprim17ROCPRIM_400000_NS6detail17trampoline_kernelINS0_14default_configENS1_20scan_config_selectorIfEEZZNS1_9scan_implILNS1_25lookback_scan_determinismE0ELb1ELb1ES3_N6thrust23THRUST_200600_302600_NS6detail15normal_iteratorINS9_10device_ptrIKfEEEENSB_INSC_IfEEEEfNS9_4plusIvEEfEEDaPvRmT3_T4_T5_mT6_P12ihipStream_tbENKUlT_T0_E_clISt17integral_constantIbLb0EESX_EEDaSS_ST_EUlSS_E0_NS1_11comp_targetILNS1_3genE10ELNS1_11target_archE1201ELNS1_3gpuE5ELNS1_3repE0EEENS1_30default_config_static_selectorELNS0_4arch9wavefront6targetE1EEEvT1_
	.p2align	8
	.type	_ZN7rocprim17ROCPRIM_400000_NS6detail17trampoline_kernelINS0_14default_configENS1_20scan_config_selectorIfEEZZNS1_9scan_implILNS1_25lookback_scan_determinismE0ELb1ELb1ES3_N6thrust23THRUST_200600_302600_NS6detail15normal_iteratorINS9_10device_ptrIKfEEEENSB_INSC_IfEEEEfNS9_4plusIvEEfEEDaPvRmT3_T4_T5_mT6_P12ihipStream_tbENKUlT_T0_E_clISt17integral_constantIbLb0EESX_EEDaSS_ST_EUlSS_E0_NS1_11comp_targetILNS1_3genE10ELNS1_11target_archE1201ELNS1_3gpuE5ELNS1_3repE0EEENS1_30default_config_static_selectorELNS0_4arch9wavefront6targetE1EEEvT1_,@function
_ZN7rocprim17ROCPRIM_400000_NS6detail17trampoline_kernelINS0_14default_configENS1_20scan_config_selectorIfEEZZNS1_9scan_implILNS1_25lookback_scan_determinismE0ELb1ELb1ES3_N6thrust23THRUST_200600_302600_NS6detail15normal_iteratorINS9_10device_ptrIKfEEEENSB_INSC_IfEEEEfNS9_4plusIvEEfEEDaPvRmT3_T4_T5_mT6_P12ihipStream_tbENKUlT_T0_E_clISt17integral_constantIbLb0EESX_EEDaSS_ST_EUlSS_E0_NS1_11comp_targetILNS1_3genE10ELNS1_11target_archE1201ELNS1_3gpuE5ELNS1_3repE0EEENS1_30default_config_static_selectorELNS0_4arch9wavefront6targetE1EEEvT1_: ; @_ZN7rocprim17ROCPRIM_400000_NS6detail17trampoline_kernelINS0_14default_configENS1_20scan_config_selectorIfEEZZNS1_9scan_implILNS1_25lookback_scan_determinismE0ELb1ELb1ES3_N6thrust23THRUST_200600_302600_NS6detail15normal_iteratorINS9_10device_ptrIKfEEEENSB_INSC_IfEEEEfNS9_4plusIvEEfEEDaPvRmT3_T4_T5_mT6_P12ihipStream_tbENKUlT_T0_E_clISt17integral_constantIbLb0EESX_EEDaSS_ST_EUlSS_E0_NS1_11comp_targetILNS1_3genE10ELNS1_11target_archE1201ELNS1_3gpuE5ELNS1_3repE0EEENS1_30default_config_static_selectorELNS0_4arch9wavefront6targetE1EEEvT1_
; %bb.0:
	.section	.rodata,"a",@progbits
	.p2align	6, 0x0
	.amdhsa_kernel _ZN7rocprim17ROCPRIM_400000_NS6detail17trampoline_kernelINS0_14default_configENS1_20scan_config_selectorIfEEZZNS1_9scan_implILNS1_25lookback_scan_determinismE0ELb1ELb1ES3_N6thrust23THRUST_200600_302600_NS6detail15normal_iteratorINS9_10device_ptrIKfEEEENSB_INSC_IfEEEEfNS9_4plusIvEEfEEDaPvRmT3_T4_T5_mT6_P12ihipStream_tbENKUlT_T0_E_clISt17integral_constantIbLb0EESX_EEDaSS_ST_EUlSS_E0_NS1_11comp_targetILNS1_3genE10ELNS1_11target_archE1201ELNS1_3gpuE5ELNS1_3repE0EEENS1_30default_config_static_selectorELNS0_4arch9wavefront6targetE1EEEvT1_
		.amdhsa_group_segment_fixed_size 0
		.amdhsa_private_segment_fixed_size 0
		.amdhsa_kernarg_size 32
		.amdhsa_user_sgpr_count 2
		.amdhsa_user_sgpr_dispatch_ptr 0
		.amdhsa_user_sgpr_queue_ptr 0
		.amdhsa_user_sgpr_kernarg_segment_ptr 1
		.amdhsa_user_sgpr_dispatch_id 0
		.amdhsa_user_sgpr_kernarg_preload_length 0
		.amdhsa_user_sgpr_kernarg_preload_offset 0
		.amdhsa_user_sgpr_private_segment_size 0
		.amdhsa_uses_dynamic_stack 0
		.amdhsa_enable_private_segment 0
		.amdhsa_system_sgpr_workgroup_id_x 1
		.amdhsa_system_sgpr_workgroup_id_y 0
		.amdhsa_system_sgpr_workgroup_id_z 0
		.amdhsa_system_sgpr_workgroup_info 0
		.amdhsa_system_vgpr_workitem_id 0
		.amdhsa_next_free_vgpr 1
		.amdhsa_next_free_sgpr 0
		.amdhsa_accum_offset 4
		.amdhsa_reserve_vcc 0
		.amdhsa_float_round_mode_32 0
		.amdhsa_float_round_mode_16_64 0
		.amdhsa_float_denorm_mode_32 3
		.amdhsa_float_denorm_mode_16_64 3
		.amdhsa_dx10_clamp 1
		.amdhsa_ieee_mode 1
		.amdhsa_fp16_overflow 0
		.amdhsa_tg_split 0
		.amdhsa_exception_fp_ieee_invalid_op 0
		.amdhsa_exception_fp_denorm_src 0
		.amdhsa_exception_fp_ieee_div_zero 0
		.amdhsa_exception_fp_ieee_overflow 0
		.amdhsa_exception_fp_ieee_underflow 0
		.amdhsa_exception_fp_ieee_inexact 0
		.amdhsa_exception_int_div_zero 0
	.end_amdhsa_kernel
	.section	.text._ZN7rocprim17ROCPRIM_400000_NS6detail17trampoline_kernelINS0_14default_configENS1_20scan_config_selectorIfEEZZNS1_9scan_implILNS1_25lookback_scan_determinismE0ELb1ELb1ES3_N6thrust23THRUST_200600_302600_NS6detail15normal_iteratorINS9_10device_ptrIKfEEEENSB_INSC_IfEEEEfNS9_4plusIvEEfEEDaPvRmT3_T4_T5_mT6_P12ihipStream_tbENKUlT_T0_E_clISt17integral_constantIbLb0EESX_EEDaSS_ST_EUlSS_E0_NS1_11comp_targetILNS1_3genE10ELNS1_11target_archE1201ELNS1_3gpuE5ELNS1_3repE0EEENS1_30default_config_static_selectorELNS0_4arch9wavefront6targetE1EEEvT1_,"axG",@progbits,_ZN7rocprim17ROCPRIM_400000_NS6detail17trampoline_kernelINS0_14default_configENS1_20scan_config_selectorIfEEZZNS1_9scan_implILNS1_25lookback_scan_determinismE0ELb1ELb1ES3_N6thrust23THRUST_200600_302600_NS6detail15normal_iteratorINS9_10device_ptrIKfEEEENSB_INSC_IfEEEEfNS9_4plusIvEEfEEDaPvRmT3_T4_T5_mT6_P12ihipStream_tbENKUlT_T0_E_clISt17integral_constantIbLb0EESX_EEDaSS_ST_EUlSS_E0_NS1_11comp_targetILNS1_3genE10ELNS1_11target_archE1201ELNS1_3gpuE5ELNS1_3repE0EEENS1_30default_config_static_selectorELNS0_4arch9wavefront6targetE1EEEvT1_,comdat
.Lfunc_end24:
	.size	_ZN7rocprim17ROCPRIM_400000_NS6detail17trampoline_kernelINS0_14default_configENS1_20scan_config_selectorIfEEZZNS1_9scan_implILNS1_25lookback_scan_determinismE0ELb1ELb1ES3_N6thrust23THRUST_200600_302600_NS6detail15normal_iteratorINS9_10device_ptrIKfEEEENSB_INSC_IfEEEEfNS9_4plusIvEEfEEDaPvRmT3_T4_T5_mT6_P12ihipStream_tbENKUlT_T0_E_clISt17integral_constantIbLb0EESX_EEDaSS_ST_EUlSS_E0_NS1_11comp_targetILNS1_3genE10ELNS1_11target_archE1201ELNS1_3gpuE5ELNS1_3repE0EEENS1_30default_config_static_selectorELNS0_4arch9wavefront6targetE1EEEvT1_, .Lfunc_end24-_ZN7rocprim17ROCPRIM_400000_NS6detail17trampoline_kernelINS0_14default_configENS1_20scan_config_selectorIfEEZZNS1_9scan_implILNS1_25lookback_scan_determinismE0ELb1ELb1ES3_N6thrust23THRUST_200600_302600_NS6detail15normal_iteratorINS9_10device_ptrIKfEEEENSB_INSC_IfEEEEfNS9_4plusIvEEfEEDaPvRmT3_T4_T5_mT6_P12ihipStream_tbENKUlT_T0_E_clISt17integral_constantIbLb0EESX_EEDaSS_ST_EUlSS_E0_NS1_11comp_targetILNS1_3genE10ELNS1_11target_archE1201ELNS1_3gpuE5ELNS1_3repE0EEENS1_30default_config_static_selectorELNS0_4arch9wavefront6targetE1EEEvT1_
                                        ; -- End function
	.section	.AMDGPU.csdata,"",@progbits
; Kernel info:
; codeLenInByte = 0
; NumSgprs: 6
; NumVgprs: 0
; NumAgprs: 0
; TotalNumVgprs: 0
; ScratchSize: 0
; MemoryBound: 0
; FloatMode: 240
; IeeeMode: 1
; LDSByteSize: 0 bytes/workgroup (compile time only)
; SGPRBlocks: 0
; VGPRBlocks: 0
; NumSGPRsForWavesPerEU: 6
; NumVGPRsForWavesPerEU: 1
; AccumOffset: 4
; Occupancy: 8
; WaveLimiterHint : 0
; COMPUTE_PGM_RSRC2:SCRATCH_EN: 0
; COMPUTE_PGM_RSRC2:USER_SGPR: 2
; COMPUTE_PGM_RSRC2:TRAP_HANDLER: 0
; COMPUTE_PGM_RSRC2:TGID_X_EN: 1
; COMPUTE_PGM_RSRC2:TGID_Y_EN: 0
; COMPUTE_PGM_RSRC2:TGID_Z_EN: 0
; COMPUTE_PGM_RSRC2:TIDIG_COMP_CNT: 0
; COMPUTE_PGM_RSRC3_GFX90A:ACCUM_OFFSET: 0
; COMPUTE_PGM_RSRC3_GFX90A:TG_SPLIT: 0
	.section	.text._ZN7rocprim17ROCPRIM_400000_NS6detail17trampoline_kernelINS0_14default_configENS1_20scan_config_selectorIfEEZZNS1_9scan_implILNS1_25lookback_scan_determinismE0ELb1ELb1ES3_N6thrust23THRUST_200600_302600_NS6detail15normal_iteratorINS9_10device_ptrIKfEEEENSB_INSC_IfEEEEfNS9_4plusIvEEfEEDaPvRmT3_T4_T5_mT6_P12ihipStream_tbENKUlT_T0_E_clISt17integral_constantIbLb0EESX_EEDaSS_ST_EUlSS_E0_NS1_11comp_targetILNS1_3genE10ELNS1_11target_archE1200ELNS1_3gpuE4ELNS1_3repE0EEENS1_30default_config_static_selectorELNS0_4arch9wavefront6targetE1EEEvT1_,"axG",@progbits,_ZN7rocprim17ROCPRIM_400000_NS6detail17trampoline_kernelINS0_14default_configENS1_20scan_config_selectorIfEEZZNS1_9scan_implILNS1_25lookback_scan_determinismE0ELb1ELb1ES3_N6thrust23THRUST_200600_302600_NS6detail15normal_iteratorINS9_10device_ptrIKfEEEENSB_INSC_IfEEEEfNS9_4plusIvEEfEEDaPvRmT3_T4_T5_mT6_P12ihipStream_tbENKUlT_T0_E_clISt17integral_constantIbLb0EESX_EEDaSS_ST_EUlSS_E0_NS1_11comp_targetILNS1_3genE10ELNS1_11target_archE1200ELNS1_3gpuE4ELNS1_3repE0EEENS1_30default_config_static_selectorELNS0_4arch9wavefront6targetE1EEEvT1_,comdat
	.protected	_ZN7rocprim17ROCPRIM_400000_NS6detail17trampoline_kernelINS0_14default_configENS1_20scan_config_selectorIfEEZZNS1_9scan_implILNS1_25lookback_scan_determinismE0ELb1ELb1ES3_N6thrust23THRUST_200600_302600_NS6detail15normal_iteratorINS9_10device_ptrIKfEEEENSB_INSC_IfEEEEfNS9_4plusIvEEfEEDaPvRmT3_T4_T5_mT6_P12ihipStream_tbENKUlT_T0_E_clISt17integral_constantIbLb0EESX_EEDaSS_ST_EUlSS_E0_NS1_11comp_targetILNS1_3genE10ELNS1_11target_archE1200ELNS1_3gpuE4ELNS1_3repE0EEENS1_30default_config_static_selectorELNS0_4arch9wavefront6targetE1EEEvT1_ ; -- Begin function _ZN7rocprim17ROCPRIM_400000_NS6detail17trampoline_kernelINS0_14default_configENS1_20scan_config_selectorIfEEZZNS1_9scan_implILNS1_25lookback_scan_determinismE0ELb1ELb1ES3_N6thrust23THRUST_200600_302600_NS6detail15normal_iteratorINS9_10device_ptrIKfEEEENSB_INSC_IfEEEEfNS9_4plusIvEEfEEDaPvRmT3_T4_T5_mT6_P12ihipStream_tbENKUlT_T0_E_clISt17integral_constantIbLb0EESX_EEDaSS_ST_EUlSS_E0_NS1_11comp_targetILNS1_3genE10ELNS1_11target_archE1200ELNS1_3gpuE4ELNS1_3repE0EEENS1_30default_config_static_selectorELNS0_4arch9wavefront6targetE1EEEvT1_
	.globl	_ZN7rocprim17ROCPRIM_400000_NS6detail17trampoline_kernelINS0_14default_configENS1_20scan_config_selectorIfEEZZNS1_9scan_implILNS1_25lookback_scan_determinismE0ELb1ELb1ES3_N6thrust23THRUST_200600_302600_NS6detail15normal_iteratorINS9_10device_ptrIKfEEEENSB_INSC_IfEEEEfNS9_4plusIvEEfEEDaPvRmT3_T4_T5_mT6_P12ihipStream_tbENKUlT_T0_E_clISt17integral_constantIbLb0EESX_EEDaSS_ST_EUlSS_E0_NS1_11comp_targetILNS1_3genE10ELNS1_11target_archE1200ELNS1_3gpuE4ELNS1_3repE0EEENS1_30default_config_static_selectorELNS0_4arch9wavefront6targetE1EEEvT1_
	.p2align	8
	.type	_ZN7rocprim17ROCPRIM_400000_NS6detail17trampoline_kernelINS0_14default_configENS1_20scan_config_selectorIfEEZZNS1_9scan_implILNS1_25lookback_scan_determinismE0ELb1ELb1ES3_N6thrust23THRUST_200600_302600_NS6detail15normal_iteratorINS9_10device_ptrIKfEEEENSB_INSC_IfEEEEfNS9_4plusIvEEfEEDaPvRmT3_T4_T5_mT6_P12ihipStream_tbENKUlT_T0_E_clISt17integral_constantIbLb0EESX_EEDaSS_ST_EUlSS_E0_NS1_11comp_targetILNS1_3genE10ELNS1_11target_archE1200ELNS1_3gpuE4ELNS1_3repE0EEENS1_30default_config_static_selectorELNS0_4arch9wavefront6targetE1EEEvT1_,@function
_ZN7rocprim17ROCPRIM_400000_NS6detail17trampoline_kernelINS0_14default_configENS1_20scan_config_selectorIfEEZZNS1_9scan_implILNS1_25lookback_scan_determinismE0ELb1ELb1ES3_N6thrust23THRUST_200600_302600_NS6detail15normal_iteratorINS9_10device_ptrIKfEEEENSB_INSC_IfEEEEfNS9_4plusIvEEfEEDaPvRmT3_T4_T5_mT6_P12ihipStream_tbENKUlT_T0_E_clISt17integral_constantIbLb0EESX_EEDaSS_ST_EUlSS_E0_NS1_11comp_targetILNS1_3genE10ELNS1_11target_archE1200ELNS1_3gpuE4ELNS1_3repE0EEENS1_30default_config_static_selectorELNS0_4arch9wavefront6targetE1EEEvT1_: ; @_ZN7rocprim17ROCPRIM_400000_NS6detail17trampoline_kernelINS0_14default_configENS1_20scan_config_selectorIfEEZZNS1_9scan_implILNS1_25lookback_scan_determinismE0ELb1ELb1ES3_N6thrust23THRUST_200600_302600_NS6detail15normal_iteratorINS9_10device_ptrIKfEEEENSB_INSC_IfEEEEfNS9_4plusIvEEfEEDaPvRmT3_T4_T5_mT6_P12ihipStream_tbENKUlT_T0_E_clISt17integral_constantIbLb0EESX_EEDaSS_ST_EUlSS_E0_NS1_11comp_targetILNS1_3genE10ELNS1_11target_archE1200ELNS1_3gpuE4ELNS1_3repE0EEENS1_30default_config_static_selectorELNS0_4arch9wavefront6targetE1EEEvT1_
; %bb.0:
	.section	.rodata,"a",@progbits
	.p2align	6, 0x0
	.amdhsa_kernel _ZN7rocprim17ROCPRIM_400000_NS6detail17trampoline_kernelINS0_14default_configENS1_20scan_config_selectorIfEEZZNS1_9scan_implILNS1_25lookback_scan_determinismE0ELb1ELb1ES3_N6thrust23THRUST_200600_302600_NS6detail15normal_iteratorINS9_10device_ptrIKfEEEENSB_INSC_IfEEEEfNS9_4plusIvEEfEEDaPvRmT3_T4_T5_mT6_P12ihipStream_tbENKUlT_T0_E_clISt17integral_constantIbLb0EESX_EEDaSS_ST_EUlSS_E0_NS1_11comp_targetILNS1_3genE10ELNS1_11target_archE1200ELNS1_3gpuE4ELNS1_3repE0EEENS1_30default_config_static_selectorELNS0_4arch9wavefront6targetE1EEEvT1_
		.amdhsa_group_segment_fixed_size 0
		.amdhsa_private_segment_fixed_size 0
		.amdhsa_kernarg_size 32
		.amdhsa_user_sgpr_count 2
		.amdhsa_user_sgpr_dispatch_ptr 0
		.amdhsa_user_sgpr_queue_ptr 0
		.amdhsa_user_sgpr_kernarg_segment_ptr 1
		.amdhsa_user_sgpr_dispatch_id 0
		.amdhsa_user_sgpr_kernarg_preload_length 0
		.amdhsa_user_sgpr_kernarg_preload_offset 0
		.amdhsa_user_sgpr_private_segment_size 0
		.amdhsa_uses_dynamic_stack 0
		.amdhsa_enable_private_segment 0
		.amdhsa_system_sgpr_workgroup_id_x 1
		.amdhsa_system_sgpr_workgroup_id_y 0
		.amdhsa_system_sgpr_workgroup_id_z 0
		.amdhsa_system_sgpr_workgroup_info 0
		.amdhsa_system_vgpr_workitem_id 0
		.amdhsa_next_free_vgpr 1
		.amdhsa_next_free_sgpr 0
		.amdhsa_accum_offset 4
		.amdhsa_reserve_vcc 0
		.amdhsa_float_round_mode_32 0
		.amdhsa_float_round_mode_16_64 0
		.amdhsa_float_denorm_mode_32 3
		.amdhsa_float_denorm_mode_16_64 3
		.amdhsa_dx10_clamp 1
		.amdhsa_ieee_mode 1
		.amdhsa_fp16_overflow 0
		.amdhsa_tg_split 0
		.amdhsa_exception_fp_ieee_invalid_op 0
		.amdhsa_exception_fp_denorm_src 0
		.amdhsa_exception_fp_ieee_div_zero 0
		.amdhsa_exception_fp_ieee_overflow 0
		.amdhsa_exception_fp_ieee_underflow 0
		.amdhsa_exception_fp_ieee_inexact 0
		.amdhsa_exception_int_div_zero 0
	.end_amdhsa_kernel
	.section	.text._ZN7rocprim17ROCPRIM_400000_NS6detail17trampoline_kernelINS0_14default_configENS1_20scan_config_selectorIfEEZZNS1_9scan_implILNS1_25lookback_scan_determinismE0ELb1ELb1ES3_N6thrust23THRUST_200600_302600_NS6detail15normal_iteratorINS9_10device_ptrIKfEEEENSB_INSC_IfEEEEfNS9_4plusIvEEfEEDaPvRmT3_T4_T5_mT6_P12ihipStream_tbENKUlT_T0_E_clISt17integral_constantIbLb0EESX_EEDaSS_ST_EUlSS_E0_NS1_11comp_targetILNS1_3genE10ELNS1_11target_archE1200ELNS1_3gpuE4ELNS1_3repE0EEENS1_30default_config_static_selectorELNS0_4arch9wavefront6targetE1EEEvT1_,"axG",@progbits,_ZN7rocprim17ROCPRIM_400000_NS6detail17trampoline_kernelINS0_14default_configENS1_20scan_config_selectorIfEEZZNS1_9scan_implILNS1_25lookback_scan_determinismE0ELb1ELb1ES3_N6thrust23THRUST_200600_302600_NS6detail15normal_iteratorINS9_10device_ptrIKfEEEENSB_INSC_IfEEEEfNS9_4plusIvEEfEEDaPvRmT3_T4_T5_mT6_P12ihipStream_tbENKUlT_T0_E_clISt17integral_constantIbLb0EESX_EEDaSS_ST_EUlSS_E0_NS1_11comp_targetILNS1_3genE10ELNS1_11target_archE1200ELNS1_3gpuE4ELNS1_3repE0EEENS1_30default_config_static_selectorELNS0_4arch9wavefront6targetE1EEEvT1_,comdat
.Lfunc_end25:
	.size	_ZN7rocprim17ROCPRIM_400000_NS6detail17trampoline_kernelINS0_14default_configENS1_20scan_config_selectorIfEEZZNS1_9scan_implILNS1_25lookback_scan_determinismE0ELb1ELb1ES3_N6thrust23THRUST_200600_302600_NS6detail15normal_iteratorINS9_10device_ptrIKfEEEENSB_INSC_IfEEEEfNS9_4plusIvEEfEEDaPvRmT3_T4_T5_mT6_P12ihipStream_tbENKUlT_T0_E_clISt17integral_constantIbLb0EESX_EEDaSS_ST_EUlSS_E0_NS1_11comp_targetILNS1_3genE10ELNS1_11target_archE1200ELNS1_3gpuE4ELNS1_3repE0EEENS1_30default_config_static_selectorELNS0_4arch9wavefront6targetE1EEEvT1_, .Lfunc_end25-_ZN7rocprim17ROCPRIM_400000_NS6detail17trampoline_kernelINS0_14default_configENS1_20scan_config_selectorIfEEZZNS1_9scan_implILNS1_25lookback_scan_determinismE0ELb1ELb1ES3_N6thrust23THRUST_200600_302600_NS6detail15normal_iteratorINS9_10device_ptrIKfEEEENSB_INSC_IfEEEEfNS9_4plusIvEEfEEDaPvRmT3_T4_T5_mT6_P12ihipStream_tbENKUlT_T0_E_clISt17integral_constantIbLb0EESX_EEDaSS_ST_EUlSS_E0_NS1_11comp_targetILNS1_3genE10ELNS1_11target_archE1200ELNS1_3gpuE4ELNS1_3repE0EEENS1_30default_config_static_selectorELNS0_4arch9wavefront6targetE1EEEvT1_
                                        ; -- End function
	.section	.AMDGPU.csdata,"",@progbits
; Kernel info:
; codeLenInByte = 0
; NumSgprs: 6
; NumVgprs: 0
; NumAgprs: 0
; TotalNumVgprs: 0
; ScratchSize: 0
; MemoryBound: 0
; FloatMode: 240
; IeeeMode: 1
; LDSByteSize: 0 bytes/workgroup (compile time only)
; SGPRBlocks: 0
; VGPRBlocks: 0
; NumSGPRsForWavesPerEU: 6
; NumVGPRsForWavesPerEU: 1
; AccumOffset: 4
; Occupancy: 8
; WaveLimiterHint : 0
; COMPUTE_PGM_RSRC2:SCRATCH_EN: 0
; COMPUTE_PGM_RSRC2:USER_SGPR: 2
; COMPUTE_PGM_RSRC2:TRAP_HANDLER: 0
; COMPUTE_PGM_RSRC2:TGID_X_EN: 1
; COMPUTE_PGM_RSRC2:TGID_Y_EN: 0
; COMPUTE_PGM_RSRC2:TGID_Z_EN: 0
; COMPUTE_PGM_RSRC2:TIDIG_COMP_CNT: 0
; COMPUTE_PGM_RSRC3_GFX90A:ACCUM_OFFSET: 0
; COMPUTE_PGM_RSRC3_GFX90A:TG_SPLIT: 0
	.section	.text._ZN7rocprim17ROCPRIM_400000_NS6detail17trampoline_kernelINS0_14default_configENS1_20scan_config_selectorIfEEZZNS1_9scan_implILNS1_25lookback_scan_determinismE0ELb1ELb1ES3_N6thrust23THRUST_200600_302600_NS6detail15normal_iteratorINS9_10device_ptrIKfEEEENSB_INSC_IfEEEEfNS9_4plusIvEEfEEDaPvRmT3_T4_T5_mT6_P12ihipStream_tbENKUlT_T0_E_clISt17integral_constantIbLb0EESX_EEDaSS_ST_EUlSS_E0_NS1_11comp_targetILNS1_3genE9ELNS1_11target_archE1100ELNS1_3gpuE3ELNS1_3repE0EEENS1_30default_config_static_selectorELNS0_4arch9wavefront6targetE1EEEvT1_,"axG",@progbits,_ZN7rocprim17ROCPRIM_400000_NS6detail17trampoline_kernelINS0_14default_configENS1_20scan_config_selectorIfEEZZNS1_9scan_implILNS1_25lookback_scan_determinismE0ELb1ELb1ES3_N6thrust23THRUST_200600_302600_NS6detail15normal_iteratorINS9_10device_ptrIKfEEEENSB_INSC_IfEEEEfNS9_4plusIvEEfEEDaPvRmT3_T4_T5_mT6_P12ihipStream_tbENKUlT_T0_E_clISt17integral_constantIbLb0EESX_EEDaSS_ST_EUlSS_E0_NS1_11comp_targetILNS1_3genE9ELNS1_11target_archE1100ELNS1_3gpuE3ELNS1_3repE0EEENS1_30default_config_static_selectorELNS0_4arch9wavefront6targetE1EEEvT1_,comdat
	.protected	_ZN7rocprim17ROCPRIM_400000_NS6detail17trampoline_kernelINS0_14default_configENS1_20scan_config_selectorIfEEZZNS1_9scan_implILNS1_25lookback_scan_determinismE0ELb1ELb1ES3_N6thrust23THRUST_200600_302600_NS6detail15normal_iteratorINS9_10device_ptrIKfEEEENSB_INSC_IfEEEEfNS9_4plusIvEEfEEDaPvRmT3_T4_T5_mT6_P12ihipStream_tbENKUlT_T0_E_clISt17integral_constantIbLb0EESX_EEDaSS_ST_EUlSS_E0_NS1_11comp_targetILNS1_3genE9ELNS1_11target_archE1100ELNS1_3gpuE3ELNS1_3repE0EEENS1_30default_config_static_selectorELNS0_4arch9wavefront6targetE1EEEvT1_ ; -- Begin function _ZN7rocprim17ROCPRIM_400000_NS6detail17trampoline_kernelINS0_14default_configENS1_20scan_config_selectorIfEEZZNS1_9scan_implILNS1_25lookback_scan_determinismE0ELb1ELb1ES3_N6thrust23THRUST_200600_302600_NS6detail15normal_iteratorINS9_10device_ptrIKfEEEENSB_INSC_IfEEEEfNS9_4plusIvEEfEEDaPvRmT3_T4_T5_mT6_P12ihipStream_tbENKUlT_T0_E_clISt17integral_constantIbLb0EESX_EEDaSS_ST_EUlSS_E0_NS1_11comp_targetILNS1_3genE9ELNS1_11target_archE1100ELNS1_3gpuE3ELNS1_3repE0EEENS1_30default_config_static_selectorELNS0_4arch9wavefront6targetE1EEEvT1_
	.globl	_ZN7rocprim17ROCPRIM_400000_NS6detail17trampoline_kernelINS0_14default_configENS1_20scan_config_selectorIfEEZZNS1_9scan_implILNS1_25lookback_scan_determinismE0ELb1ELb1ES3_N6thrust23THRUST_200600_302600_NS6detail15normal_iteratorINS9_10device_ptrIKfEEEENSB_INSC_IfEEEEfNS9_4plusIvEEfEEDaPvRmT3_T4_T5_mT6_P12ihipStream_tbENKUlT_T0_E_clISt17integral_constantIbLb0EESX_EEDaSS_ST_EUlSS_E0_NS1_11comp_targetILNS1_3genE9ELNS1_11target_archE1100ELNS1_3gpuE3ELNS1_3repE0EEENS1_30default_config_static_selectorELNS0_4arch9wavefront6targetE1EEEvT1_
	.p2align	8
	.type	_ZN7rocprim17ROCPRIM_400000_NS6detail17trampoline_kernelINS0_14default_configENS1_20scan_config_selectorIfEEZZNS1_9scan_implILNS1_25lookback_scan_determinismE0ELb1ELb1ES3_N6thrust23THRUST_200600_302600_NS6detail15normal_iteratorINS9_10device_ptrIKfEEEENSB_INSC_IfEEEEfNS9_4plusIvEEfEEDaPvRmT3_T4_T5_mT6_P12ihipStream_tbENKUlT_T0_E_clISt17integral_constantIbLb0EESX_EEDaSS_ST_EUlSS_E0_NS1_11comp_targetILNS1_3genE9ELNS1_11target_archE1100ELNS1_3gpuE3ELNS1_3repE0EEENS1_30default_config_static_selectorELNS0_4arch9wavefront6targetE1EEEvT1_,@function
_ZN7rocprim17ROCPRIM_400000_NS6detail17trampoline_kernelINS0_14default_configENS1_20scan_config_selectorIfEEZZNS1_9scan_implILNS1_25lookback_scan_determinismE0ELb1ELb1ES3_N6thrust23THRUST_200600_302600_NS6detail15normal_iteratorINS9_10device_ptrIKfEEEENSB_INSC_IfEEEEfNS9_4plusIvEEfEEDaPvRmT3_T4_T5_mT6_P12ihipStream_tbENKUlT_T0_E_clISt17integral_constantIbLb0EESX_EEDaSS_ST_EUlSS_E0_NS1_11comp_targetILNS1_3genE9ELNS1_11target_archE1100ELNS1_3gpuE3ELNS1_3repE0EEENS1_30default_config_static_selectorELNS0_4arch9wavefront6targetE1EEEvT1_: ; @_ZN7rocprim17ROCPRIM_400000_NS6detail17trampoline_kernelINS0_14default_configENS1_20scan_config_selectorIfEEZZNS1_9scan_implILNS1_25lookback_scan_determinismE0ELb1ELb1ES3_N6thrust23THRUST_200600_302600_NS6detail15normal_iteratorINS9_10device_ptrIKfEEEENSB_INSC_IfEEEEfNS9_4plusIvEEfEEDaPvRmT3_T4_T5_mT6_P12ihipStream_tbENKUlT_T0_E_clISt17integral_constantIbLb0EESX_EEDaSS_ST_EUlSS_E0_NS1_11comp_targetILNS1_3genE9ELNS1_11target_archE1100ELNS1_3gpuE3ELNS1_3repE0EEENS1_30default_config_static_selectorELNS0_4arch9wavefront6targetE1EEEvT1_
; %bb.0:
	.section	.rodata,"a",@progbits
	.p2align	6, 0x0
	.amdhsa_kernel _ZN7rocprim17ROCPRIM_400000_NS6detail17trampoline_kernelINS0_14default_configENS1_20scan_config_selectorIfEEZZNS1_9scan_implILNS1_25lookback_scan_determinismE0ELb1ELb1ES3_N6thrust23THRUST_200600_302600_NS6detail15normal_iteratorINS9_10device_ptrIKfEEEENSB_INSC_IfEEEEfNS9_4plusIvEEfEEDaPvRmT3_T4_T5_mT6_P12ihipStream_tbENKUlT_T0_E_clISt17integral_constantIbLb0EESX_EEDaSS_ST_EUlSS_E0_NS1_11comp_targetILNS1_3genE9ELNS1_11target_archE1100ELNS1_3gpuE3ELNS1_3repE0EEENS1_30default_config_static_selectorELNS0_4arch9wavefront6targetE1EEEvT1_
		.amdhsa_group_segment_fixed_size 0
		.amdhsa_private_segment_fixed_size 0
		.amdhsa_kernarg_size 32
		.amdhsa_user_sgpr_count 2
		.amdhsa_user_sgpr_dispatch_ptr 0
		.amdhsa_user_sgpr_queue_ptr 0
		.amdhsa_user_sgpr_kernarg_segment_ptr 1
		.amdhsa_user_sgpr_dispatch_id 0
		.amdhsa_user_sgpr_kernarg_preload_length 0
		.amdhsa_user_sgpr_kernarg_preload_offset 0
		.amdhsa_user_sgpr_private_segment_size 0
		.amdhsa_uses_dynamic_stack 0
		.amdhsa_enable_private_segment 0
		.amdhsa_system_sgpr_workgroup_id_x 1
		.amdhsa_system_sgpr_workgroup_id_y 0
		.amdhsa_system_sgpr_workgroup_id_z 0
		.amdhsa_system_sgpr_workgroup_info 0
		.amdhsa_system_vgpr_workitem_id 0
		.amdhsa_next_free_vgpr 1
		.amdhsa_next_free_sgpr 0
		.amdhsa_accum_offset 4
		.amdhsa_reserve_vcc 0
		.amdhsa_float_round_mode_32 0
		.amdhsa_float_round_mode_16_64 0
		.amdhsa_float_denorm_mode_32 3
		.amdhsa_float_denorm_mode_16_64 3
		.amdhsa_dx10_clamp 1
		.amdhsa_ieee_mode 1
		.amdhsa_fp16_overflow 0
		.amdhsa_tg_split 0
		.amdhsa_exception_fp_ieee_invalid_op 0
		.amdhsa_exception_fp_denorm_src 0
		.amdhsa_exception_fp_ieee_div_zero 0
		.amdhsa_exception_fp_ieee_overflow 0
		.amdhsa_exception_fp_ieee_underflow 0
		.amdhsa_exception_fp_ieee_inexact 0
		.amdhsa_exception_int_div_zero 0
	.end_amdhsa_kernel
	.section	.text._ZN7rocprim17ROCPRIM_400000_NS6detail17trampoline_kernelINS0_14default_configENS1_20scan_config_selectorIfEEZZNS1_9scan_implILNS1_25lookback_scan_determinismE0ELb1ELb1ES3_N6thrust23THRUST_200600_302600_NS6detail15normal_iteratorINS9_10device_ptrIKfEEEENSB_INSC_IfEEEEfNS9_4plusIvEEfEEDaPvRmT3_T4_T5_mT6_P12ihipStream_tbENKUlT_T0_E_clISt17integral_constantIbLb0EESX_EEDaSS_ST_EUlSS_E0_NS1_11comp_targetILNS1_3genE9ELNS1_11target_archE1100ELNS1_3gpuE3ELNS1_3repE0EEENS1_30default_config_static_selectorELNS0_4arch9wavefront6targetE1EEEvT1_,"axG",@progbits,_ZN7rocprim17ROCPRIM_400000_NS6detail17trampoline_kernelINS0_14default_configENS1_20scan_config_selectorIfEEZZNS1_9scan_implILNS1_25lookback_scan_determinismE0ELb1ELb1ES3_N6thrust23THRUST_200600_302600_NS6detail15normal_iteratorINS9_10device_ptrIKfEEEENSB_INSC_IfEEEEfNS9_4plusIvEEfEEDaPvRmT3_T4_T5_mT6_P12ihipStream_tbENKUlT_T0_E_clISt17integral_constantIbLb0EESX_EEDaSS_ST_EUlSS_E0_NS1_11comp_targetILNS1_3genE9ELNS1_11target_archE1100ELNS1_3gpuE3ELNS1_3repE0EEENS1_30default_config_static_selectorELNS0_4arch9wavefront6targetE1EEEvT1_,comdat
.Lfunc_end26:
	.size	_ZN7rocprim17ROCPRIM_400000_NS6detail17trampoline_kernelINS0_14default_configENS1_20scan_config_selectorIfEEZZNS1_9scan_implILNS1_25lookback_scan_determinismE0ELb1ELb1ES3_N6thrust23THRUST_200600_302600_NS6detail15normal_iteratorINS9_10device_ptrIKfEEEENSB_INSC_IfEEEEfNS9_4plusIvEEfEEDaPvRmT3_T4_T5_mT6_P12ihipStream_tbENKUlT_T0_E_clISt17integral_constantIbLb0EESX_EEDaSS_ST_EUlSS_E0_NS1_11comp_targetILNS1_3genE9ELNS1_11target_archE1100ELNS1_3gpuE3ELNS1_3repE0EEENS1_30default_config_static_selectorELNS0_4arch9wavefront6targetE1EEEvT1_, .Lfunc_end26-_ZN7rocprim17ROCPRIM_400000_NS6detail17trampoline_kernelINS0_14default_configENS1_20scan_config_selectorIfEEZZNS1_9scan_implILNS1_25lookback_scan_determinismE0ELb1ELb1ES3_N6thrust23THRUST_200600_302600_NS6detail15normal_iteratorINS9_10device_ptrIKfEEEENSB_INSC_IfEEEEfNS9_4plusIvEEfEEDaPvRmT3_T4_T5_mT6_P12ihipStream_tbENKUlT_T0_E_clISt17integral_constantIbLb0EESX_EEDaSS_ST_EUlSS_E0_NS1_11comp_targetILNS1_3genE9ELNS1_11target_archE1100ELNS1_3gpuE3ELNS1_3repE0EEENS1_30default_config_static_selectorELNS0_4arch9wavefront6targetE1EEEvT1_
                                        ; -- End function
	.section	.AMDGPU.csdata,"",@progbits
; Kernel info:
; codeLenInByte = 0
; NumSgprs: 6
; NumVgprs: 0
; NumAgprs: 0
; TotalNumVgprs: 0
; ScratchSize: 0
; MemoryBound: 0
; FloatMode: 240
; IeeeMode: 1
; LDSByteSize: 0 bytes/workgroup (compile time only)
; SGPRBlocks: 0
; VGPRBlocks: 0
; NumSGPRsForWavesPerEU: 6
; NumVGPRsForWavesPerEU: 1
; AccumOffset: 4
; Occupancy: 8
; WaveLimiterHint : 0
; COMPUTE_PGM_RSRC2:SCRATCH_EN: 0
; COMPUTE_PGM_RSRC2:USER_SGPR: 2
; COMPUTE_PGM_RSRC2:TRAP_HANDLER: 0
; COMPUTE_PGM_RSRC2:TGID_X_EN: 1
; COMPUTE_PGM_RSRC2:TGID_Y_EN: 0
; COMPUTE_PGM_RSRC2:TGID_Z_EN: 0
; COMPUTE_PGM_RSRC2:TIDIG_COMP_CNT: 0
; COMPUTE_PGM_RSRC3_GFX90A:ACCUM_OFFSET: 0
; COMPUTE_PGM_RSRC3_GFX90A:TG_SPLIT: 0
	.section	.text._ZN7rocprim17ROCPRIM_400000_NS6detail17trampoline_kernelINS0_14default_configENS1_20scan_config_selectorIfEEZZNS1_9scan_implILNS1_25lookback_scan_determinismE0ELb1ELb1ES3_N6thrust23THRUST_200600_302600_NS6detail15normal_iteratorINS9_10device_ptrIKfEEEENSB_INSC_IfEEEEfNS9_4plusIvEEfEEDaPvRmT3_T4_T5_mT6_P12ihipStream_tbENKUlT_T0_E_clISt17integral_constantIbLb0EESX_EEDaSS_ST_EUlSS_E0_NS1_11comp_targetILNS1_3genE8ELNS1_11target_archE1030ELNS1_3gpuE2ELNS1_3repE0EEENS1_30default_config_static_selectorELNS0_4arch9wavefront6targetE1EEEvT1_,"axG",@progbits,_ZN7rocprim17ROCPRIM_400000_NS6detail17trampoline_kernelINS0_14default_configENS1_20scan_config_selectorIfEEZZNS1_9scan_implILNS1_25lookback_scan_determinismE0ELb1ELb1ES3_N6thrust23THRUST_200600_302600_NS6detail15normal_iteratorINS9_10device_ptrIKfEEEENSB_INSC_IfEEEEfNS9_4plusIvEEfEEDaPvRmT3_T4_T5_mT6_P12ihipStream_tbENKUlT_T0_E_clISt17integral_constantIbLb0EESX_EEDaSS_ST_EUlSS_E0_NS1_11comp_targetILNS1_3genE8ELNS1_11target_archE1030ELNS1_3gpuE2ELNS1_3repE0EEENS1_30default_config_static_selectorELNS0_4arch9wavefront6targetE1EEEvT1_,comdat
	.protected	_ZN7rocprim17ROCPRIM_400000_NS6detail17trampoline_kernelINS0_14default_configENS1_20scan_config_selectorIfEEZZNS1_9scan_implILNS1_25lookback_scan_determinismE0ELb1ELb1ES3_N6thrust23THRUST_200600_302600_NS6detail15normal_iteratorINS9_10device_ptrIKfEEEENSB_INSC_IfEEEEfNS9_4plusIvEEfEEDaPvRmT3_T4_T5_mT6_P12ihipStream_tbENKUlT_T0_E_clISt17integral_constantIbLb0EESX_EEDaSS_ST_EUlSS_E0_NS1_11comp_targetILNS1_3genE8ELNS1_11target_archE1030ELNS1_3gpuE2ELNS1_3repE0EEENS1_30default_config_static_selectorELNS0_4arch9wavefront6targetE1EEEvT1_ ; -- Begin function _ZN7rocprim17ROCPRIM_400000_NS6detail17trampoline_kernelINS0_14default_configENS1_20scan_config_selectorIfEEZZNS1_9scan_implILNS1_25lookback_scan_determinismE0ELb1ELb1ES3_N6thrust23THRUST_200600_302600_NS6detail15normal_iteratorINS9_10device_ptrIKfEEEENSB_INSC_IfEEEEfNS9_4plusIvEEfEEDaPvRmT3_T4_T5_mT6_P12ihipStream_tbENKUlT_T0_E_clISt17integral_constantIbLb0EESX_EEDaSS_ST_EUlSS_E0_NS1_11comp_targetILNS1_3genE8ELNS1_11target_archE1030ELNS1_3gpuE2ELNS1_3repE0EEENS1_30default_config_static_selectorELNS0_4arch9wavefront6targetE1EEEvT1_
	.globl	_ZN7rocprim17ROCPRIM_400000_NS6detail17trampoline_kernelINS0_14default_configENS1_20scan_config_selectorIfEEZZNS1_9scan_implILNS1_25lookback_scan_determinismE0ELb1ELb1ES3_N6thrust23THRUST_200600_302600_NS6detail15normal_iteratorINS9_10device_ptrIKfEEEENSB_INSC_IfEEEEfNS9_4plusIvEEfEEDaPvRmT3_T4_T5_mT6_P12ihipStream_tbENKUlT_T0_E_clISt17integral_constantIbLb0EESX_EEDaSS_ST_EUlSS_E0_NS1_11comp_targetILNS1_3genE8ELNS1_11target_archE1030ELNS1_3gpuE2ELNS1_3repE0EEENS1_30default_config_static_selectorELNS0_4arch9wavefront6targetE1EEEvT1_
	.p2align	8
	.type	_ZN7rocprim17ROCPRIM_400000_NS6detail17trampoline_kernelINS0_14default_configENS1_20scan_config_selectorIfEEZZNS1_9scan_implILNS1_25lookback_scan_determinismE0ELb1ELb1ES3_N6thrust23THRUST_200600_302600_NS6detail15normal_iteratorINS9_10device_ptrIKfEEEENSB_INSC_IfEEEEfNS9_4plusIvEEfEEDaPvRmT3_T4_T5_mT6_P12ihipStream_tbENKUlT_T0_E_clISt17integral_constantIbLb0EESX_EEDaSS_ST_EUlSS_E0_NS1_11comp_targetILNS1_3genE8ELNS1_11target_archE1030ELNS1_3gpuE2ELNS1_3repE0EEENS1_30default_config_static_selectorELNS0_4arch9wavefront6targetE1EEEvT1_,@function
_ZN7rocprim17ROCPRIM_400000_NS6detail17trampoline_kernelINS0_14default_configENS1_20scan_config_selectorIfEEZZNS1_9scan_implILNS1_25lookback_scan_determinismE0ELb1ELb1ES3_N6thrust23THRUST_200600_302600_NS6detail15normal_iteratorINS9_10device_ptrIKfEEEENSB_INSC_IfEEEEfNS9_4plusIvEEfEEDaPvRmT3_T4_T5_mT6_P12ihipStream_tbENKUlT_T0_E_clISt17integral_constantIbLb0EESX_EEDaSS_ST_EUlSS_E0_NS1_11comp_targetILNS1_3genE8ELNS1_11target_archE1030ELNS1_3gpuE2ELNS1_3repE0EEENS1_30default_config_static_selectorELNS0_4arch9wavefront6targetE1EEEvT1_: ; @_ZN7rocprim17ROCPRIM_400000_NS6detail17trampoline_kernelINS0_14default_configENS1_20scan_config_selectorIfEEZZNS1_9scan_implILNS1_25lookback_scan_determinismE0ELb1ELb1ES3_N6thrust23THRUST_200600_302600_NS6detail15normal_iteratorINS9_10device_ptrIKfEEEENSB_INSC_IfEEEEfNS9_4plusIvEEfEEDaPvRmT3_T4_T5_mT6_P12ihipStream_tbENKUlT_T0_E_clISt17integral_constantIbLb0EESX_EEDaSS_ST_EUlSS_E0_NS1_11comp_targetILNS1_3genE8ELNS1_11target_archE1030ELNS1_3gpuE2ELNS1_3repE0EEENS1_30default_config_static_selectorELNS0_4arch9wavefront6targetE1EEEvT1_
; %bb.0:
	.section	.rodata,"a",@progbits
	.p2align	6, 0x0
	.amdhsa_kernel _ZN7rocprim17ROCPRIM_400000_NS6detail17trampoline_kernelINS0_14default_configENS1_20scan_config_selectorIfEEZZNS1_9scan_implILNS1_25lookback_scan_determinismE0ELb1ELb1ES3_N6thrust23THRUST_200600_302600_NS6detail15normal_iteratorINS9_10device_ptrIKfEEEENSB_INSC_IfEEEEfNS9_4plusIvEEfEEDaPvRmT3_T4_T5_mT6_P12ihipStream_tbENKUlT_T0_E_clISt17integral_constantIbLb0EESX_EEDaSS_ST_EUlSS_E0_NS1_11comp_targetILNS1_3genE8ELNS1_11target_archE1030ELNS1_3gpuE2ELNS1_3repE0EEENS1_30default_config_static_selectorELNS0_4arch9wavefront6targetE1EEEvT1_
		.amdhsa_group_segment_fixed_size 0
		.amdhsa_private_segment_fixed_size 0
		.amdhsa_kernarg_size 32
		.amdhsa_user_sgpr_count 2
		.amdhsa_user_sgpr_dispatch_ptr 0
		.amdhsa_user_sgpr_queue_ptr 0
		.amdhsa_user_sgpr_kernarg_segment_ptr 1
		.amdhsa_user_sgpr_dispatch_id 0
		.amdhsa_user_sgpr_kernarg_preload_length 0
		.amdhsa_user_sgpr_kernarg_preload_offset 0
		.amdhsa_user_sgpr_private_segment_size 0
		.amdhsa_uses_dynamic_stack 0
		.amdhsa_enable_private_segment 0
		.amdhsa_system_sgpr_workgroup_id_x 1
		.amdhsa_system_sgpr_workgroup_id_y 0
		.amdhsa_system_sgpr_workgroup_id_z 0
		.amdhsa_system_sgpr_workgroup_info 0
		.amdhsa_system_vgpr_workitem_id 0
		.amdhsa_next_free_vgpr 1
		.amdhsa_next_free_sgpr 0
		.amdhsa_accum_offset 4
		.amdhsa_reserve_vcc 0
		.amdhsa_float_round_mode_32 0
		.amdhsa_float_round_mode_16_64 0
		.amdhsa_float_denorm_mode_32 3
		.amdhsa_float_denorm_mode_16_64 3
		.amdhsa_dx10_clamp 1
		.amdhsa_ieee_mode 1
		.amdhsa_fp16_overflow 0
		.amdhsa_tg_split 0
		.amdhsa_exception_fp_ieee_invalid_op 0
		.amdhsa_exception_fp_denorm_src 0
		.amdhsa_exception_fp_ieee_div_zero 0
		.amdhsa_exception_fp_ieee_overflow 0
		.amdhsa_exception_fp_ieee_underflow 0
		.amdhsa_exception_fp_ieee_inexact 0
		.amdhsa_exception_int_div_zero 0
	.end_amdhsa_kernel
	.section	.text._ZN7rocprim17ROCPRIM_400000_NS6detail17trampoline_kernelINS0_14default_configENS1_20scan_config_selectorIfEEZZNS1_9scan_implILNS1_25lookback_scan_determinismE0ELb1ELb1ES3_N6thrust23THRUST_200600_302600_NS6detail15normal_iteratorINS9_10device_ptrIKfEEEENSB_INSC_IfEEEEfNS9_4plusIvEEfEEDaPvRmT3_T4_T5_mT6_P12ihipStream_tbENKUlT_T0_E_clISt17integral_constantIbLb0EESX_EEDaSS_ST_EUlSS_E0_NS1_11comp_targetILNS1_3genE8ELNS1_11target_archE1030ELNS1_3gpuE2ELNS1_3repE0EEENS1_30default_config_static_selectorELNS0_4arch9wavefront6targetE1EEEvT1_,"axG",@progbits,_ZN7rocprim17ROCPRIM_400000_NS6detail17trampoline_kernelINS0_14default_configENS1_20scan_config_selectorIfEEZZNS1_9scan_implILNS1_25lookback_scan_determinismE0ELb1ELb1ES3_N6thrust23THRUST_200600_302600_NS6detail15normal_iteratorINS9_10device_ptrIKfEEEENSB_INSC_IfEEEEfNS9_4plusIvEEfEEDaPvRmT3_T4_T5_mT6_P12ihipStream_tbENKUlT_T0_E_clISt17integral_constantIbLb0EESX_EEDaSS_ST_EUlSS_E0_NS1_11comp_targetILNS1_3genE8ELNS1_11target_archE1030ELNS1_3gpuE2ELNS1_3repE0EEENS1_30default_config_static_selectorELNS0_4arch9wavefront6targetE1EEEvT1_,comdat
.Lfunc_end27:
	.size	_ZN7rocprim17ROCPRIM_400000_NS6detail17trampoline_kernelINS0_14default_configENS1_20scan_config_selectorIfEEZZNS1_9scan_implILNS1_25lookback_scan_determinismE0ELb1ELb1ES3_N6thrust23THRUST_200600_302600_NS6detail15normal_iteratorINS9_10device_ptrIKfEEEENSB_INSC_IfEEEEfNS9_4plusIvEEfEEDaPvRmT3_T4_T5_mT6_P12ihipStream_tbENKUlT_T0_E_clISt17integral_constantIbLb0EESX_EEDaSS_ST_EUlSS_E0_NS1_11comp_targetILNS1_3genE8ELNS1_11target_archE1030ELNS1_3gpuE2ELNS1_3repE0EEENS1_30default_config_static_selectorELNS0_4arch9wavefront6targetE1EEEvT1_, .Lfunc_end27-_ZN7rocprim17ROCPRIM_400000_NS6detail17trampoline_kernelINS0_14default_configENS1_20scan_config_selectorIfEEZZNS1_9scan_implILNS1_25lookback_scan_determinismE0ELb1ELb1ES3_N6thrust23THRUST_200600_302600_NS6detail15normal_iteratorINS9_10device_ptrIKfEEEENSB_INSC_IfEEEEfNS9_4plusIvEEfEEDaPvRmT3_T4_T5_mT6_P12ihipStream_tbENKUlT_T0_E_clISt17integral_constantIbLb0EESX_EEDaSS_ST_EUlSS_E0_NS1_11comp_targetILNS1_3genE8ELNS1_11target_archE1030ELNS1_3gpuE2ELNS1_3repE0EEENS1_30default_config_static_selectorELNS0_4arch9wavefront6targetE1EEEvT1_
                                        ; -- End function
	.section	.AMDGPU.csdata,"",@progbits
; Kernel info:
; codeLenInByte = 0
; NumSgprs: 6
; NumVgprs: 0
; NumAgprs: 0
; TotalNumVgprs: 0
; ScratchSize: 0
; MemoryBound: 0
; FloatMode: 240
; IeeeMode: 1
; LDSByteSize: 0 bytes/workgroup (compile time only)
; SGPRBlocks: 0
; VGPRBlocks: 0
; NumSGPRsForWavesPerEU: 6
; NumVGPRsForWavesPerEU: 1
; AccumOffset: 4
; Occupancy: 8
; WaveLimiterHint : 0
; COMPUTE_PGM_RSRC2:SCRATCH_EN: 0
; COMPUTE_PGM_RSRC2:USER_SGPR: 2
; COMPUTE_PGM_RSRC2:TRAP_HANDLER: 0
; COMPUTE_PGM_RSRC2:TGID_X_EN: 1
; COMPUTE_PGM_RSRC2:TGID_Y_EN: 0
; COMPUTE_PGM_RSRC2:TGID_Z_EN: 0
; COMPUTE_PGM_RSRC2:TIDIG_COMP_CNT: 0
; COMPUTE_PGM_RSRC3_GFX90A:ACCUM_OFFSET: 0
; COMPUTE_PGM_RSRC3_GFX90A:TG_SPLIT: 0
	.section	.text._ZN7rocprim17ROCPRIM_400000_NS6detail31init_lookback_scan_state_kernelINS1_19lookback_scan_stateIfLb1ELb1EEENS1_16block_id_wrapperIjLb1EEEEEvT_jT0_jPNS7_10value_typeE,"axG",@progbits,_ZN7rocprim17ROCPRIM_400000_NS6detail31init_lookback_scan_state_kernelINS1_19lookback_scan_stateIfLb1ELb1EEENS1_16block_id_wrapperIjLb1EEEEEvT_jT0_jPNS7_10value_typeE,comdat
	.protected	_ZN7rocprim17ROCPRIM_400000_NS6detail31init_lookback_scan_state_kernelINS1_19lookback_scan_stateIfLb1ELb1EEENS1_16block_id_wrapperIjLb1EEEEEvT_jT0_jPNS7_10value_typeE ; -- Begin function _ZN7rocprim17ROCPRIM_400000_NS6detail31init_lookback_scan_state_kernelINS1_19lookback_scan_stateIfLb1ELb1EEENS1_16block_id_wrapperIjLb1EEEEEvT_jT0_jPNS7_10value_typeE
	.globl	_ZN7rocprim17ROCPRIM_400000_NS6detail31init_lookback_scan_state_kernelINS1_19lookback_scan_stateIfLb1ELb1EEENS1_16block_id_wrapperIjLb1EEEEEvT_jT0_jPNS7_10value_typeE
	.p2align	8
	.type	_ZN7rocprim17ROCPRIM_400000_NS6detail31init_lookback_scan_state_kernelINS1_19lookback_scan_stateIfLb1ELb1EEENS1_16block_id_wrapperIjLb1EEEEEvT_jT0_jPNS7_10value_typeE,@function
_ZN7rocprim17ROCPRIM_400000_NS6detail31init_lookback_scan_state_kernelINS1_19lookback_scan_stateIfLb1ELb1EEENS1_16block_id_wrapperIjLb1EEEEEvT_jT0_jPNS7_10value_typeE: ; @_ZN7rocprim17ROCPRIM_400000_NS6detail31init_lookback_scan_state_kernelINS1_19lookback_scan_stateIfLb1ELb1EEENS1_16block_id_wrapperIjLb1EEEEEvT_jT0_jPNS7_10value_typeE
; %bb.0:
	s_load_dword s3, s[0:1], 0x34
	s_load_dwordx2 s[6:7], s[0:1], 0x20
	s_load_dwordx2 s[4:5], s[0:1], 0x0
	s_load_dword s10, s[0:1], 0x8
	s_waitcnt lgkmcnt(0)
	s_and_b32 s3, s3, 0xffff
	s_mul_i32 s2, s2, s3
	s_cmp_eq_u64 s[6:7], 0
	v_add_u32_e32 v0, s2, v0
	s_cbranch_scc1 .LBB28_9
; %bb.1:
	s_load_dword s8, s[0:1], 0x18
	s_mov_b32 s9, 0
	s_waitcnt lgkmcnt(0)
	s_cmp_lt_u32 s8, s10
	s_cselect_b32 s2, s8, 0
	v_cmp_eq_u32_e32 vcc, s2, v0
	s_and_saveexec_b64 s[2:3], vcc
	s_cbranch_execz .LBB28_8
; %bb.2:
	s_add_i32 s8, s8, 64
	s_lshl_b64 s[8:9], s[8:9], 3
	s_add_u32 s8, s4, s8
	s_addc_u32 s9, s5, s9
	v_mov_b32_e32 v2, 0
	global_load_dwordx2 v[4:5], v2, s[8:9] sc1
	s_waitcnt vmcnt(0)
	v_and_b32_e32 v3, 0xff, v5
	v_cmp_ne_u64_e32 vcc, 0, v[2:3]
	s_cbranch_vccnz .LBB28_7
; %bb.3:
	s_mov_b32 s11, 1
.LBB28_4:                               ; =>This Loop Header: Depth=1
                                        ;     Child Loop BB28_5 Depth 2
	s_max_u32 s12, s11, 1
.LBB28_5:                               ;   Parent Loop BB28_4 Depth=1
                                        ; =>  This Inner Loop Header: Depth=2
	s_add_i32 s12, s12, -1
	s_cmp_eq_u32 s12, 0
	s_sleep 1
	s_cbranch_scc0 .LBB28_5
; %bb.6:                                ;   in Loop: Header=BB28_4 Depth=1
	global_load_dwordx2 v[4:5], v2, s[8:9] sc1
	s_cmp_lt_u32 s11, 32
	s_cselect_b64 s[12:13], -1, 0
	s_cmp_lg_u64 s[12:13], 0
	s_addc_u32 s11, s11, 0
	s_waitcnt vmcnt(0)
	v_and_b32_e32 v3, 0xff, v5
	v_cmp_ne_u64_e32 vcc, 0, v[2:3]
	s_cbranch_vccz .LBB28_4
.LBB28_7:
	v_mov_b32_e32 v1, 0
	global_store_dword v1, v4, s[6:7]
.LBB28_8:
	s_or_b64 exec, exec, s[2:3]
.LBB28_9:
	v_cmp_eq_u32_e32 vcc, 0, v0
	s_and_saveexec_b64 s[2:3], vcc
	s_cbranch_execnz .LBB28_13
; %bb.10:
	s_or_b64 exec, exec, s[2:3]
	v_cmp_gt_u32_e32 vcc, s10, v0
	s_and_saveexec_b64 s[0:1], vcc
	s_cbranch_execnz .LBB28_14
.LBB28_11:
	s_or_b64 exec, exec, s[0:1]
	v_cmp_gt_u32_e32 vcc, 64, v0
	s_and_saveexec_b64 s[0:1], vcc
	s_cbranch_execnz .LBB28_15
.LBB28_12:
	s_endpgm
.LBB28_13:
	s_load_dwordx2 s[0:1], s[0:1], 0x10
	v_mov_b32_e32 v1, 0
	s_waitcnt lgkmcnt(0)
	global_store_dword v1, v1, s[0:1]
	s_or_b64 exec, exec, s[2:3]
	v_cmp_gt_u32_e32 vcc, s10, v0
	s_and_saveexec_b64 s[0:1], vcc
	s_cbranch_execz .LBB28_11
.LBB28_14:
	v_add_u32_e32 v2, 64, v0
	v_mov_b32_e32 v3, 0
	v_lshl_add_u64 v[4:5], v[2:3], 3, s[4:5]
	v_mov_b32_e32 v2, v3
	global_store_dwordx2 v[4:5], v[2:3], off
	s_or_b64 exec, exec, s[0:1]
	v_cmp_gt_u32_e32 vcc, 64, v0
	s_and_saveexec_b64 s[0:1], vcc
	s_cbranch_execz .LBB28_12
.LBB28_15:
	v_mov_b32_e32 v1, 0
	v_lshl_add_u64 v[2:3], v[0:1], 3, s[4:5]
	v_mov_b32_e32 v5, 0xff
	v_mov_b32_e32 v4, v1
	global_store_dwordx2 v[2:3], v[4:5], off
	s_endpgm
	.section	.rodata,"a",@progbits
	.p2align	6, 0x0
	.amdhsa_kernel _ZN7rocprim17ROCPRIM_400000_NS6detail31init_lookback_scan_state_kernelINS1_19lookback_scan_stateIfLb1ELb1EEENS1_16block_id_wrapperIjLb1EEEEEvT_jT0_jPNS7_10value_typeE
		.amdhsa_group_segment_fixed_size 0
		.amdhsa_private_segment_fixed_size 0
		.amdhsa_kernarg_size 296
		.amdhsa_user_sgpr_count 2
		.amdhsa_user_sgpr_dispatch_ptr 0
		.amdhsa_user_sgpr_queue_ptr 0
		.amdhsa_user_sgpr_kernarg_segment_ptr 1
		.amdhsa_user_sgpr_dispatch_id 0
		.amdhsa_user_sgpr_kernarg_preload_length 0
		.amdhsa_user_sgpr_kernarg_preload_offset 0
		.amdhsa_user_sgpr_private_segment_size 0
		.amdhsa_uses_dynamic_stack 0
		.amdhsa_enable_private_segment 0
		.amdhsa_system_sgpr_workgroup_id_x 1
		.amdhsa_system_sgpr_workgroup_id_y 0
		.amdhsa_system_sgpr_workgroup_id_z 0
		.amdhsa_system_sgpr_workgroup_info 0
		.amdhsa_system_vgpr_workitem_id 0
		.amdhsa_next_free_vgpr 6
		.amdhsa_next_free_sgpr 14
		.amdhsa_accum_offset 8
		.amdhsa_reserve_vcc 1
		.amdhsa_float_round_mode_32 0
		.amdhsa_float_round_mode_16_64 0
		.amdhsa_float_denorm_mode_32 3
		.amdhsa_float_denorm_mode_16_64 3
		.amdhsa_dx10_clamp 1
		.amdhsa_ieee_mode 1
		.amdhsa_fp16_overflow 0
		.amdhsa_tg_split 0
		.amdhsa_exception_fp_ieee_invalid_op 0
		.amdhsa_exception_fp_denorm_src 0
		.amdhsa_exception_fp_ieee_div_zero 0
		.amdhsa_exception_fp_ieee_overflow 0
		.amdhsa_exception_fp_ieee_underflow 0
		.amdhsa_exception_fp_ieee_inexact 0
		.amdhsa_exception_int_div_zero 0
	.end_amdhsa_kernel
	.section	.text._ZN7rocprim17ROCPRIM_400000_NS6detail31init_lookback_scan_state_kernelINS1_19lookback_scan_stateIfLb1ELb1EEENS1_16block_id_wrapperIjLb1EEEEEvT_jT0_jPNS7_10value_typeE,"axG",@progbits,_ZN7rocprim17ROCPRIM_400000_NS6detail31init_lookback_scan_state_kernelINS1_19lookback_scan_stateIfLb1ELb1EEENS1_16block_id_wrapperIjLb1EEEEEvT_jT0_jPNS7_10value_typeE,comdat
.Lfunc_end28:
	.size	_ZN7rocprim17ROCPRIM_400000_NS6detail31init_lookback_scan_state_kernelINS1_19lookback_scan_stateIfLb1ELb1EEENS1_16block_id_wrapperIjLb1EEEEEvT_jT0_jPNS7_10value_typeE, .Lfunc_end28-_ZN7rocprim17ROCPRIM_400000_NS6detail31init_lookback_scan_state_kernelINS1_19lookback_scan_stateIfLb1ELb1EEENS1_16block_id_wrapperIjLb1EEEEEvT_jT0_jPNS7_10value_typeE
                                        ; -- End function
	.section	.AMDGPU.csdata,"",@progbits
; Kernel info:
; codeLenInByte = 396
; NumSgprs: 20
; NumVgprs: 6
; NumAgprs: 0
; TotalNumVgprs: 6
; ScratchSize: 0
; MemoryBound: 0
; FloatMode: 240
; IeeeMode: 1
; LDSByteSize: 0 bytes/workgroup (compile time only)
; SGPRBlocks: 2
; VGPRBlocks: 0
; NumSGPRsForWavesPerEU: 20
; NumVGPRsForWavesPerEU: 6
; AccumOffset: 8
; Occupancy: 8
; WaveLimiterHint : 0
; COMPUTE_PGM_RSRC2:SCRATCH_EN: 0
; COMPUTE_PGM_RSRC2:USER_SGPR: 2
; COMPUTE_PGM_RSRC2:TRAP_HANDLER: 0
; COMPUTE_PGM_RSRC2:TGID_X_EN: 1
; COMPUTE_PGM_RSRC2:TGID_Y_EN: 0
; COMPUTE_PGM_RSRC2:TGID_Z_EN: 0
; COMPUTE_PGM_RSRC2:TIDIG_COMP_CNT: 0
; COMPUTE_PGM_RSRC3_GFX90A:ACCUM_OFFSET: 1
; COMPUTE_PGM_RSRC3_GFX90A:TG_SPLIT: 0
	.section	.text._ZN7rocprim17ROCPRIM_400000_NS6detail17trampoline_kernelINS0_14default_configENS1_20scan_config_selectorIfEEZZNS1_9scan_implILNS1_25lookback_scan_determinismE0ELb1ELb1ES3_N6thrust23THRUST_200600_302600_NS6detail15normal_iteratorINS9_10device_ptrIKfEEEENSB_INSC_IfEEEEfNS9_4plusIvEEfEEDaPvRmT3_T4_T5_mT6_P12ihipStream_tbENKUlT_T0_E_clISt17integral_constantIbLb1EESX_EEDaSS_ST_EUlSS_E_NS1_11comp_targetILNS1_3genE0ELNS1_11target_archE4294967295ELNS1_3gpuE0ELNS1_3repE0EEENS1_30default_config_static_selectorELNS0_4arch9wavefront6targetE1EEEvT1_,"axG",@progbits,_ZN7rocprim17ROCPRIM_400000_NS6detail17trampoline_kernelINS0_14default_configENS1_20scan_config_selectorIfEEZZNS1_9scan_implILNS1_25lookback_scan_determinismE0ELb1ELb1ES3_N6thrust23THRUST_200600_302600_NS6detail15normal_iteratorINS9_10device_ptrIKfEEEENSB_INSC_IfEEEEfNS9_4plusIvEEfEEDaPvRmT3_T4_T5_mT6_P12ihipStream_tbENKUlT_T0_E_clISt17integral_constantIbLb1EESX_EEDaSS_ST_EUlSS_E_NS1_11comp_targetILNS1_3genE0ELNS1_11target_archE4294967295ELNS1_3gpuE0ELNS1_3repE0EEENS1_30default_config_static_selectorELNS0_4arch9wavefront6targetE1EEEvT1_,comdat
	.protected	_ZN7rocprim17ROCPRIM_400000_NS6detail17trampoline_kernelINS0_14default_configENS1_20scan_config_selectorIfEEZZNS1_9scan_implILNS1_25lookback_scan_determinismE0ELb1ELb1ES3_N6thrust23THRUST_200600_302600_NS6detail15normal_iteratorINS9_10device_ptrIKfEEEENSB_INSC_IfEEEEfNS9_4plusIvEEfEEDaPvRmT3_T4_T5_mT6_P12ihipStream_tbENKUlT_T0_E_clISt17integral_constantIbLb1EESX_EEDaSS_ST_EUlSS_E_NS1_11comp_targetILNS1_3genE0ELNS1_11target_archE4294967295ELNS1_3gpuE0ELNS1_3repE0EEENS1_30default_config_static_selectorELNS0_4arch9wavefront6targetE1EEEvT1_ ; -- Begin function _ZN7rocprim17ROCPRIM_400000_NS6detail17trampoline_kernelINS0_14default_configENS1_20scan_config_selectorIfEEZZNS1_9scan_implILNS1_25lookback_scan_determinismE0ELb1ELb1ES3_N6thrust23THRUST_200600_302600_NS6detail15normal_iteratorINS9_10device_ptrIKfEEEENSB_INSC_IfEEEEfNS9_4plusIvEEfEEDaPvRmT3_T4_T5_mT6_P12ihipStream_tbENKUlT_T0_E_clISt17integral_constantIbLb1EESX_EEDaSS_ST_EUlSS_E_NS1_11comp_targetILNS1_3genE0ELNS1_11target_archE4294967295ELNS1_3gpuE0ELNS1_3repE0EEENS1_30default_config_static_selectorELNS0_4arch9wavefront6targetE1EEEvT1_
	.globl	_ZN7rocprim17ROCPRIM_400000_NS6detail17trampoline_kernelINS0_14default_configENS1_20scan_config_selectorIfEEZZNS1_9scan_implILNS1_25lookback_scan_determinismE0ELb1ELb1ES3_N6thrust23THRUST_200600_302600_NS6detail15normal_iteratorINS9_10device_ptrIKfEEEENSB_INSC_IfEEEEfNS9_4plusIvEEfEEDaPvRmT3_T4_T5_mT6_P12ihipStream_tbENKUlT_T0_E_clISt17integral_constantIbLb1EESX_EEDaSS_ST_EUlSS_E_NS1_11comp_targetILNS1_3genE0ELNS1_11target_archE4294967295ELNS1_3gpuE0ELNS1_3repE0EEENS1_30default_config_static_selectorELNS0_4arch9wavefront6targetE1EEEvT1_
	.p2align	8
	.type	_ZN7rocprim17ROCPRIM_400000_NS6detail17trampoline_kernelINS0_14default_configENS1_20scan_config_selectorIfEEZZNS1_9scan_implILNS1_25lookback_scan_determinismE0ELb1ELb1ES3_N6thrust23THRUST_200600_302600_NS6detail15normal_iteratorINS9_10device_ptrIKfEEEENSB_INSC_IfEEEEfNS9_4plusIvEEfEEDaPvRmT3_T4_T5_mT6_P12ihipStream_tbENKUlT_T0_E_clISt17integral_constantIbLb1EESX_EEDaSS_ST_EUlSS_E_NS1_11comp_targetILNS1_3genE0ELNS1_11target_archE4294967295ELNS1_3gpuE0ELNS1_3repE0EEENS1_30default_config_static_selectorELNS0_4arch9wavefront6targetE1EEEvT1_,@function
_ZN7rocprim17ROCPRIM_400000_NS6detail17trampoline_kernelINS0_14default_configENS1_20scan_config_selectorIfEEZZNS1_9scan_implILNS1_25lookback_scan_determinismE0ELb1ELb1ES3_N6thrust23THRUST_200600_302600_NS6detail15normal_iteratorINS9_10device_ptrIKfEEEENSB_INSC_IfEEEEfNS9_4plusIvEEfEEDaPvRmT3_T4_T5_mT6_P12ihipStream_tbENKUlT_T0_E_clISt17integral_constantIbLb1EESX_EEDaSS_ST_EUlSS_E_NS1_11comp_targetILNS1_3genE0ELNS1_11target_archE4294967295ELNS1_3gpuE0ELNS1_3repE0EEENS1_30default_config_static_selectorELNS0_4arch9wavefront6targetE1EEEvT1_: ; @_ZN7rocprim17ROCPRIM_400000_NS6detail17trampoline_kernelINS0_14default_configENS1_20scan_config_selectorIfEEZZNS1_9scan_implILNS1_25lookback_scan_determinismE0ELb1ELb1ES3_N6thrust23THRUST_200600_302600_NS6detail15normal_iteratorINS9_10device_ptrIKfEEEENSB_INSC_IfEEEEfNS9_4plusIvEEfEEDaPvRmT3_T4_T5_mT6_P12ihipStream_tbENKUlT_T0_E_clISt17integral_constantIbLb1EESX_EEDaSS_ST_EUlSS_E_NS1_11comp_targetILNS1_3genE0ELNS1_11target_archE4294967295ELNS1_3gpuE0ELNS1_3repE0EEENS1_30default_config_static_selectorELNS0_4arch9wavefront6targetE1EEEvT1_
; %bb.0:
	.section	.rodata,"a",@progbits
	.p2align	6, 0x0
	.amdhsa_kernel _ZN7rocprim17ROCPRIM_400000_NS6detail17trampoline_kernelINS0_14default_configENS1_20scan_config_selectorIfEEZZNS1_9scan_implILNS1_25lookback_scan_determinismE0ELb1ELb1ES3_N6thrust23THRUST_200600_302600_NS6detail15normal_iteratorINS9_10device_ptrIKfEEEENSB_INSC_IfEEEEfNS9_4plusIvEEfEEDaPvRmT3_T4_T5_mT6_P12ihipStream_tbENKUlT_T0_E_clISt17integral_constantIbLb1EESX_EEDaSS_ST_EUlSS_E_NS1_11comp_targetILNS1_3genE0ELNS1_11target_archE4294967295ELNS1_3gpuE0ELNS1_3repE0EEENS1_30default_config_static_selectorELNS0_4arch9wavefront6targetE1EEEvT1_
		.amdhsa_group_segment_fixed_size 0
		.amdhsa_private_segment_fixed_size 0
		.amdhsa_kernarg_size 96
		.amdhsa_user_sgpr_count 2
		.amdhsa_user_sgpr_dispatch_ptr 0
		.amdhsa_user_sgpr_queue_ptr 0
		.amdhsa_user_sgpr_kernarg_segment_ptr 1
		.amdhsa_user_sgpr_dispatch_id 0
		.amdhsa_user_sgpr_kernarg_preload_length 0
		.amdhsa_user_sgpr_kernarg_preload_offset 0
		.amdhsa_user_sgpr_private_segment_size 0
		.amdhsa_uses_dynamic_stack 0
		.amdhsa_enable_private_segment 0
		.amdhsa_system_sgpr_workgroup_id_x 1
		.amdhsa_system_sgpr_workgroup_id_y 0
		.amdhsa_system_sgpr_workgroup_id_z 0
		.amdhsa_system_sgpr_workgroup_info 0
		.amdhsa_system_vgpr_workitem_id 0
		.amdhsa_next_free_vgpr 1
		.amdhsa_next_free_sgpr 0
		.amdhsa_accum_offset 4
		.amdhsa_reserve_vcc 0
		.amdhsa_float_round_mode_32 0
		.amdhsa_float_round_mode_16_64 0
		.amdhsa_float_denorm_mode_32 3
		.amdhsa_float_denorm_mode_16_64 3
		.amdhsa_dx10_clamp 1
		.amdhsa_ieee_mode 1
		.amdhsa_fp16_overflow 0
		.amdhsa_tg_split 0
		.amdhsa_exception_fp_ieee_invalid_op 0
		.amdhsa_exception_fp_denorm_src 0
		.amdhsa_exception_fp_ieee_div_zero 0
		.amdhsa_exception_fp_ieee_overflow 0
		.amdhsa_exception_fp_ieee_underflow 0
		.amdhsa_exception_fp_ieee_inexact 0
		.amdhsa_exception_int_div_zero 0
	.end_amdhsa_kernel
	.section	.text._ZN7rocprim17ROCPRIM_400000_NS6detail17trampoline_kernelINS0_14default_configENS1_20scan_config_selectorIfEEZZNS1_9scan_implILNS1_25lookback_scan_determinismE0ELb1ELb1ES3_N6thrust23THRUST_200600_302600_NS6detail15normal_iteratorINS9_10device_ptrIKfEEEENSB_INSC_IfEEEEfNS9_4plusIvEEfEEDaPvRmT3_T4_T5_mT6_P12ihipStream_tbENKUlT_T0_E_clISt17integral_constantIbLb1EESX_EEDaSS_ST_EUlSS_E_NS1_11comp_targetILNS1_3genE0ELNS1_11target_archE4294967295ELNS1_3gpuE0ELNS1_3repE0EEENS1_30default_config_static_selectorELNS0_4arch9wavefront6targetE1EEEvT1_,"axG",@progbits,_ZN7rocprim17ROCPRIM_400000_NS6detail17trampoline_kernelINS0_14default_configENS1_20scan_config_selectorIfEEZZNS1_9scan_implILNS1_25lookback_scan_determinismE0ELb1ELb1ES3_N6thrust23THRUST_200600_302600_NS6detail15normal_iteratorINS9_10device_ptrIKfEEEENSB_INSC_IfEEEEfNS9_4plusIvEEfEEDaPvRmT3_T4_T5_mT6_P12ihipStream_tbENKUlT_T0_E_clISt17integral_constantIbLb1EESX_EEDaSS_ST_EUlSS_E_NS1_11comp_targetILNS1_3genE0ELNS1_11target_archE4294967295ELNS1_3gpuE0ELNS1_3repE0EEENS1_30default_config_static_selectorELNS0_4arch9wavefront6targetE1EEEvT1_,comdat
.Lfunc_end29:
	.size	_ZN7rocprim17ROCPRIM_400000_NS6detail17trampoline_kernelINS0_14default_configENS1_20scan_config_selectorIfEEZZNS1_9scan_implILNS1_25lookback_scan_determinismE0ELb1ELb1ES3_N6thrust23THRUST_200600_302600_NS6detail15normal_iteratorINS9_10device_ptrIKfEEEENSB_INSC_IfEEEEfNS9_4plusIvEEfEEDaPvRmT3_T4_T5_mT6_P12ihipStream_tbENKUlT_T0_E_clISt17integral_constantIbLb1EESX_EEDaSS_ST_EUlSS_E_NS1_11comp_targetILNS1_3genE0ELNS1_11target_archE4294967295ELNS1_3gpuE0ELNS1_3repE0EEENS1_30default_config_static_selectorELNS0_4arch9wavefront6targetE1EEEvT1_, .Lfunc_end29-_ZN7rocprim17ROCPRIM_400000_NS6detail17trampoline_kernelINS0_14default_configENS1_20scan_config_selectorIfEEZZNS1_9scan_implILNS1_25lookback_scan_determinismE0ELb1ELb1ES3_N6thrust23THRUST_200600_302600_NS6detail15normal_iteratorINS9_10device_ptrIKfEEEENSB_INSC_IfEEEEfNS9_4plusIvEEfEEDaPvRmT3_T4_T5_mT6_P12ihipStream_tbENKUlT_T0_E_clISt17integral_constantIbLb1EESX_EEDaSS_ST_EUlSS_E_NS1_11comp_targetILNS1_3genE0ELNS1_11target_archE4294967295ELNS1_3gpuE0ELNS1_3repE0EEENS1_30default_config_static_selectorELNS0_4arch9wavefront6targetE1EEEvT1_
                                        ; -- End function
	.section	.AMDGPU.csdata,"",@progbits
; Kernel info:
; codeLenInByte = 0
; NumSgprs: 6
; NumVgprs: 0
; NumAgprs: 0
; TotalNumVgprs: 0
; ScratchSize: 0
; MemoryBound: 0
; FloatMode: 240
; IeeeMode: 1
; LDSByteSize: 0 bytes/workgroup (compile time only)
; SGPRBlocks: 0
; VGPRBlocks: 0
; NumSGPRsForWavesPerEU: 6
; NumVGPRsForWavesPerEU: 1
; AccumOffset: 4
; Occupancy: 8
; WaveLimiterHint : 0
; COMPUTE_PGM_RSRC2:SCRATCH_EN: 0
; COMPUTE_PGM_RSRC2:USER_SGPR: 2
; COMPUTE_PGM_RSRC2:TRAP_HANDLER: 0
; COMPUTE_PGM_RSRC2:TGID_X_EN: 1
; COMPUTE_PGM_RSRC2:TGID_Y_EN: 0
; COMPUTE_PGM_RSRC2:TGID_Z_EN: 0
; COMPUTE_PGM_RSRC2:TIDIG_COMP_CNT: 0
; COMPUTE_PGM_RSRC3_GFX90A:ACCUM_OFFSET: 0
; COMPUTE_PGM_RSRC3_GFX90A:TG_SPLIT: 0
	.section	.text._ZN7rocprim17ROCPRIM_400000_NS6detail17trampoline_kernelINS0_14default_configENS1_20scan_config_selectorIfEEZZNS1_9scan_implILNS1_25lookback_scan_determinismE0ELb1ELb1ES3_N6thrust23THRUST_200600_302600_NS6detail15normal_iteratorINS9_10device_ptrIKfEEEENSB_INSC_IfEEEEfNS9_4plusIvEEfEEDaPvRmT3_T4_T5_mT6_P12ihipStream_tbENKUlT_T0_E_clISt17integral_constantIbLb1EESX_EEDaSS_ST_EUlSS_E_NS1_11comp_targetILNS1_3genE5ELNS1_11target_archE942ELNS1_3gpuE9ELNS1_3repE0EEENS1_30default_config_static_selectorELNS0_4arch9wavefront6targetE1EEEvT1_,"axG",@progbits,_ZN7rocprim17ROCPRIM_400000_NS6detail17trampoline_kernelINS0_14default_configENS1_20scan_config_selectorIfEEZZNS1_9scan_implILNS1_25lookback_scan_determinismE0ELb1ELb1ES3_N6thrust23THRUST_200600_302600_NS6detail15normal_iteratorINS9_10device_ptrIKfEEEENSB_INSC_IfEEEEfNS9_4plusIvEEfEEDaPvRmT3_T4_T5_mT6_P12ihipStream_tbENKUlT_T0_E_clISt17integral_constantIbLb1EESX_EEDaSS_ST_EUlSS_E_NS1_11comp_targetILNS1_3genE5ELNS1_11target_archE942ELNS1_3gpuE9ELNS1_3repE0EEENS1_30default_config_static_selectorELNS0_4arch9wavefront6targetE1EEEvT1_,comdat
	.protected	_ZN7rocprim17ROCPRIM_400000_NS6detail17trampoline_kernelINS0_14default_configENS1_20scan_config_selectorIfEEZZNS1_9scan_implILNS1_25lookback_scan_determinismE0ELb1ELb1ES3_N6thrust23THRUST_200600_302600_NS6detail15normal_iteratorINS9_10device_ptrIKfEEEENSB_INSC_IfEEEEfNS9_4plusIvEEfEEDaPvRmT3_T4_T5_mT6_P12ihipStream_tbENKUlT_T0_E_clISt17integral_constantIbLb1EESX_EEDaSS_ST_EUlSS_E_NS1_11comp_targetILNS1_3genE5ELNS1_11target_archE942ELNS1_3gpuE9ELNS1_3repE0EEENS1_30default_config_static_selectorELNS0_4arch9wavefront6targetE1EEEvT1_ ; -- Begin function _ZN7rocprim17ROCPRIM_400000_NS6detail17trampoline_kernelINS0_14default_configENS1_20scan_config_selectorIfEEZZNS1_9scan_implILNS1_25lookback_scan_determinismE0ELb1ELb1ES3_N6thrust23THRUST_200600_302600_NS6detail15normal_iteratorINS9_10device_ptrIKfEEEENSB_INSC_IfEEEEfNS9_4plusIvEEfEEDaPvRmT3_T4_T5_mT6_P12ihipStream_tbENKUlT_T0_E_clISt17integral_constantIbLb1EESX_EEDaSS_ST_EUlSS_E_NS1_11comp_targetILNS1_3genE5ELNS1_11target_archE942ELNS1_3gpuE9ELNS1_3repE0EEENS1_30default_config_static_selectorELNS0_4arch9wavefront6targetE1EEEvT1_
	.globl	_ZN7rocprim17ROCPRIM_400000_NS6detail17trampoline_kernelINS0_14default_configENS1_20scan_config_selectorIfEEZZNS1_9scan_implILNS1_25lookback_scan_determinismE0ELb1ELb1ES3_N6thrust23THRUST_200600_302600_NS6detail15normal_iteratorINS9_10device_ptrIKfEEEENSB_INSC_IfEEEEfNS9_4plusIvEEfEEDaPvRmT3_T4_T5_mT6_P12ihipStream_tbENKUlT_T0_E_clISt17integral_constantIbLb1EESX_EEDaSS_ST_EUlSS_E_NS1_11comp_targetILNS1_3genE5ELNS1_11target_archE942ELNS1_3gpuE9ELNS1_3repE0EEENS1_30default_config_static_selectorELNS0_4arch9wavefront6targetE1EEEvT1_
	.p2align	8
	.type	_ZN7rocprim17ROCPRIM_400000_NS6detail17trampoline_kernelINS0_14default_configENS1_20scan_config_selectorIfEEZZNS1_9scan_implILNS1_25lookback_scan_determinismE0ELb1ELb1ES3_N6thrust23THRUST_200600_302600_NS6detail15normal_iteratorINS9_10device_ptrIKfEEEENSB_INSC_IfEEEEfNS9_4plusIvEEfEEDaPvRmT3_T4_T5_mT6_P12ihipStream_tbENKUlT_T0_E_clISt17integral_constantIbLb1EESX_EEDaSS_ST_EUlSS_E_NS1_11comp_targetILNS1_3genE5ELNS1_11target_archE942ELNS1_3gpuE9ELNS1_3repE0EEENS1_30default_config_static_selectorELNS0_4arch9wavefront6targetE1EEEvT1_,@function
_ZN7rocprim17ROCPRIM_400000_NS6detail17trampoline_kernelINS0_14default_configENS1_20scan_config_selectorIfEEZZNS1_9scan_implILNS1_25lookback_scan_determinismE0ELb1ELb1ES3_N6thrust23THRUST_200600_302600_NS6detail15normal_iteratorINS9_10device_ptrIKfEEEENSB_INSC_IfEEEEfNS9_4plusIvEEfEEDaPvRmT3_T4_T5_mT6_P12ihipStream_tbENKUlT_T0_E_clISt17integral_constantIbLb1EESX_EEDaSS_ST_EUlSS_E_NS1_11comp_targetILNS1_3genE5ELNS1_11target_archE942ELNS1_3gpuE9ELNS1_3repE0EEENS1_30default_config_static_selectorELNS0_4arch9wavefront6targetE1EEEvT1_: ; @_ZN7rocprim17ROCPRIM_400000_NS6detail17trampoline_kernelINS0_14default_configENS1_20scan_config_selectorIfEEZZNS1_9scan_implILNS1_25lookback_scan_determinismE0ELb1ELb1ES3_N6thrust23THRUST_200600_302600_NS6detail15normal_iteratorINS9_10device_ptrIKfEEEENSB_INSC_IfEEEEfNS9_4plusIvEEfEEDaPvRmT3_T4_T5_mT6_P12ihipStream_tbENKUlT_T0_E_clISt17integral_constantIbLb1EESX_EEDaSS_ST_EUlSS_E_NS1_11comp_targetILNS1_3genE5ELNS1_11target_archE942ELNS1_3gpuE9ELNS1_3repE0EEENS1_30default_config_static_selectorELNS0_4arch9wavefront6targetE1EEEvT1_
; %bb.0:
	s_load_dword s37, s[0:1], 0x20
	s_load_dwordx2 s[14:15], s[0:1], 0x28
	v_cmp_ne_u32_e64 s[2:3], 0, v0
	v_cmp_eq_u32_e64 s[6:7], 0, v0
	s_and_saveexec_b64 s[4:5], s[6:7]
	s_cbranch_execz .LBB30_4
; %bb.1:
	s_mov_b64 s[10:11], exec
	v_mbcnt_lo_u32_b32 v1, s10, 0
	v_mbcnt_hi_u32_b32 v1, s11, v1
	v_cmp_eq_u32_e32 vcc, 0, v1
                                        ; implicit-def: $vgpr2
	s_and_saveexec_b64 s[8:9], vcc
	s_cbranch_execz .LBB30_3
; %bb.2:
	s_load_dwordx2 s[12:13], s[0:1], 0x58
	s_bcnt1_i32_b64 s10, s[10:11]
	v_mov_b32_e32 v2, 0
	v_mov_b32_e32 v3, s10
	s_waitcnt lgkmcnt(0)
	global_atomic_add v2, v2, v3, s[12:13] sc0
.LBB30_3:
	s_or_b64 exec, exec, s[8:9]
	s_waitcnt vmcnt(0)
	v_readfirstlane_b32 s8, v2
	v_mov_b32_e32 v2, 0
	s_nop 0
	v_add_u32_e32 v1, s8, v1
	ds_write_b32 v2, v1
.LBB30_4:
	s_or_b64 exec, exec, s[4:5]
	s_load_dwordx8 s[24:31], s[0:1], 0x0
	s_load_dword s4, s[0:1], 0x30
	s_load_dwordx8 s[16:23], s[0:1], 0x38
	v_mov_b32_e32 v31, 0
	s_waitcnt lgkmcnt(0)
	s_barrier
	ds_read_b32 v1, v31
	s_lshl_b64 s[34:35], s[26:27], 2
	s_add_u32 s38, s24, s34
	s_addc_u32 s39, s25, s35
	s_add_i32 s4, s4, -1
	s_mul_i32 s5, s4, 0x1800
	s_sub_u32 s33, s30, s5
	s_waitcnt lgkmcnt(0)
	v_readfirstlane_b32 s40, v1
	s_subb_u32 s36, s31, 0
	s_mul_i32 s0, s40, 0x1800
	s_mov_b32 s1, 0
	s_cmp_lg_u32 s40, s4
	s_cselect_b64 s[24:25], -1, 0
	s_lshl_b64 s[26:27], s[0:1], 2
	s_add_u32 s4, s38, s26
	s_addc_u32 s5, s39, s27
	s_mov_b64 s[0:1], -1
	s_and_b64 vcc, exec, s[24:25]
	v_lshlrev_b32_e32 v30, 2, v0
	s_barrier
	s_cbranch_vccz .LBB30_6
; %bb.5:
	v_lshl_add_u64 v[2:3], s[4:5], 0, v[30:31]
	v_add_co_u32_e32 v4, vcc, 0x1000, v2
	s_mov_b64 s[0:1], 0
	s_nop 0
	v_addc_co_u32_e32 v5, vcc, 0, v3, vcc
	flat_load_dword v1, v[2:3]
	flat_load_dword v8, v[2:3] offset:1024
	flat_load_dword v9, v[2:3] offset:2048
	;; [unrolled: 1-line block ×3, first 2 shown]
	flat_load_dword v11, v[4:5]
	flat_load_dword v12, v[4:5] offset:1024
	flat_load_dword v13, v[4:5] offset:2048
	;; [unrolled: 1-line block ×3, first 2 shown]
	v_add_co_u32_e32 v4, vcc, 0x2000, v2
	s_nop 1
	v_addc_co_u32_e32 v5, vcc, 0, v3, vcc
	v_add_co_u32_e32 v6, vcc, 0x3000, v2
	s_nop 1
	v_addc_co_u32_e32 v7, vcc, 0, v3, vcc
	flat_load_dword v15, v[4:5]
	flat_load_dword v16, v[4:5] offset:1024
	flat_load_dword v17, v[4:5] offset:2048
	;; [unrolled: 1-line block ×3, first 2 shown]
	flat_load_dword v19, v[6:7]
	flat_load_dword v20, v[6:7] offset:1024
	flat_load_dword v21, v[6:7] offset:2048
	;; [unrolled: 1-line block ×3, first 2 shown]
	v_add_co_u32_e32 v4, vcc, 0x4000, v2
	s_nop 1
	v_addc_co_u32_e32 v5, vcc, 0, v3, vcc
	v_add_co_u32_e32 v2, vcc, 0x5000, v2
	s_nop 1
	v_addc_co_u32_e32 v3, vcc, 0, v3, vcc
	flat_load_dword v6, v[4:5]
	flat_load_dword v7, v[4:5] offset:1024
	flat_load_dword v23, v[4:5] offset:2048
	;; [unrolled: 1-line block ×3, first 2 shown]
	flat_load_dword v25, v[2:3]
	flat_load_dword v26, v[2:3] offset:1024
	flat_load_dword v27, v[2:3] offset:2048
	;; [unrolled: 1-line block ×3, first 2 shown]
	s_waitcnt vmcnt(0) lgkmcnt(0)
	ds_write2st64_b32 v30, v1, v8 offset1:4
	ds_write2st64_b32 v30, v9, v10 offset0:8 offset1:12
	ds_write2st64_b32 v30, v11, v12 offset0:16 offset1:20
	;; [unrolled: 1-line block ×11, first 2 shown]
	s_waitcnt lgkmcnt(0)
	s_barrier
.LBB30_6:
	s_andn2_b64 vcc, exec, s[0:1]
	v_cmp_gt_u32_e64 s[0:1], s33, v0
	s_cbranch_vccnz .LBB30_56
; %bb.7:
	v_mov_b64_e32 v[2:3], s[4:5]
	flat_load_dword v1, v[2:3]
	s_waitcnt vmcnt(0) lgkmcnt(0)
	v_mov_b32_e32 v2, v1
	s_and_saveexec_b64 s[8:9], s[0:1]
	s_cbranch_execz .LBB30_9
; %bb.8:
	v_mov_b32_e32 v31, 0
	v_lshl_add_u64 v[2:3], s[4:5], 0, v[30:31]
	flat_load_dword v2, v[2:3]
.LBB30_9:
	s_or_b64 exec, exec, s[8:9]
	v_or_b32_e32 v3, 0x100, v0
	v_cmp_gt_u32_e32 vcc, s33, v3
	v_mov_b32_e32 v3, v1
	s_and_saveexec_b64 s[0:1], vcc
	s_cbranch_execz .LBB30_11
; %bb.10:
	v_mov_b32_e32 v31, 0
	v_lshl_add_u64 v[4:5], s[4:5], 0, v[30:31]
	flat_load_dword v3, v[4:5] offset:1024
.LBB30_11:
	s_or_b64 exec, exec, s[0:1]
	v_or_b32_e32 v4, 0x200, v0
	v_cmp_gt_u32_e32 vcc, s33, v4
	v_mov_b32_e32 v4, v1
	s_and_saveexec_b64 s[0:1], vcc
	s_cbranch_execz .LBB30_13
; %bb.12:
	v_mov_b32_e32 v31, 0
	v_lshl_add_u64 v[4:5], s[4:5], 0, v[30:31]
	flat_load_dword v4, v[4:5] offset:2048
.LBB30_13:
	s_or_b64 exec, exec, s[0:1]
	v_or_b32_e32 v5, 0x300, v0
	v_cmp_gt_u32_e32 vcc, s33, v5
	v_mov_b32_e32 v5, v1
	s_and_saveexec_b64 s[0:1], vcc
	s_cbranch_execz .LBB30_15
; %bb.14:
	v_mov_b32_e32 v31, 0
	v_lshl_add_u64 v[6:7], s[4:5], 0, v[30:31]
	flat_load_dword v5, v[6:7] offset:3072
.LBB30_15:
	s_or_b64 exec, exec, s[0:1]
	v_or_b32_e32 v7, 0x400, v0
	v_cmp_gt_u32_e32 vcc, s33, v7
	v_mov_b32_e32 v6, v1
	s_and_saveexec_b64 s[0:1], vcc
	s_cbranch_execz .LBB30_17
; %bb.16:
	v_lshlrev_b32_e32 v6, 2, v7
	v_mov_b32_e32 v7, 0
	v_lshl_add_u64 v[6:7], s[4:5], 0, v[6:7]
	flat_load_dword v6, v[6:7]
.LBB30_17:
	s_or_b64 exec, exec, s[0:1]
	v_or_b32_e32 v8, 0x500, v0
	v_cmp_gt_u32_e32 vcc, s33, v8
	v_mov_b32_e32 v7, v1
	s_and_saveexec_b64 s[0:1], vcc
	s_cbranch_execz .LBB30_19
; %bb.18:
	v_lshlrev_b32_e32 v8, 2, v8
	v_mov_b32_e32 v9, 0
	v_lshl_add_u64 v[8:9], s[4:5], 0, v[8:9]
	flat_load_dword v7, v[8:9]
.LBB30_19:
	;; [unrolled: 12-line block ×19, first 2 shown]
	s_or_b64 exec, exec, s[0:1]
	v_or_b32_e32 v25, 0x1700, v0
	v_cmp_gt_u32_e32 vcc, s33, v25
	s_and_saveexec_b64 s[0:1], vcc
	s_cbranch_execz .LBB30_55
; %bb.54:
	v_lshlrev_b32_e32 v26, 2, v25
	v_mov_b32_e32 v27, 0
	v_lshl_add_u64 v[26:27], s[4:5], 0, v[26:27]
	flat_load_dword v1, v[26:27]
.LBB30_55:
	s_or_b64 exec, exec, s[0:1]
	s_waitcnt vmcnt(0) lgkmcnt(0)
	ds_write2st64_b32 v30, v2, v3 offset1:4
	ds_write2st64_b32 v30, v4, v5 offset0:8 offset1:12
	ds_write2st64_b32 v30, v6, v7 offset0:16 offset1:20
	ds_write2st64_b32 v30, v8, v9 offset0:24 offset1:28
	ds_write2st64_b32 v30, v10, v11 offset0:32 offset1:36
	ds_write2st64_b32 v30, v12, v13 offset0:40 offset1:44
	ds_write2st64_b32 v30, v14, v15 offset0:48 offset1:52
	ds_write2st64_b32 v30, v16, v17 offset0:56 offset1:60
	ds_write2st64_b32 v30, v18, v19 offset0:64 offset1:68
	ds_write2st64_b32 v30, v20, v21 offset0:72 offset1:76
	ds_write2st64_b32 v30, v22, v23 offset0:80 offset1:84
	ds_write2st64_b32 v30, v24, v1 offset0:88 offset1:92
	s_waitcnt lgkmcnt(0)
	s_barrier
.LBB30_56:
	v_mul_u32_u24_e32 v38, 24, v0
	v_lshlrev_b32_e32 v1, 2, v38
	ds_read_b128 v[22:25], v1
	ds_read_b128 v[18:21], v1 offset:16
	ds_read_b128 v[14:17], v1 offset:32
	;; [unrolled: 1-line block ×5, first 2 shown]
	s_waitcnt lgkmcnt(5)
	v_add_f32_e32 v26, v22, v23
	s_cmp_lg_u32 s40, 0
	v_add_f32_e32 v39, v26, v24
	v_lshrrev_b32_e32 v31, 5, v0
	v_cmp_gt_u32_e32 vcc, 64, v0
	s_waitcnt lgkmcnt(0)
	s_barrier
	s_cbranch_scc0 .LBB30_85
; %bb.57:
	v_add_f32_e32 v26, v39, v25
	v_add_f32_e32 v26, v26, v18
	;; [unrolled: 1-line block ×21, first 2 shown]
	v_add_lshl_u32 v26, v31, v0, 2
	ds_write_b32 v26, v40
	s_waitcnt lgkmcnt(0)
	s_barrier
	s_and_saveexec_b64 s[10:11], vcc
	s_cbranch_execz .LBB30_59
; %bb.58:
	v_lshrrev_b32_e32 v26, 3, v0
	v_add_lshl_u32 v32, v26, v30, 2
	ds_read2_b32 v[26:27], v32 offset1:1
	ds_read2_b32 v[28:29], v32 offset0:2 offset1:3
	v_mbcnt_lo_u32_b32 v33, -1, 0
	v_mbcnt_hi_u32_b32 v33, -1, v33
	v_and_b32_e32 v34, 15, v33
	s_waitcnt lgkmcnt(1)
	v_add_f32_e32 v27, v26, v27
	s_waitcnt lgkmcnt(0)
	v_add_f32_e32 v27, v27, v28
	v_add_f32_e32 v27, v27, v29
	v_cmp_eq_u32_e64 s[0:1], 0, v34
	v_cmp_lt_u32_e64 s[4:5], 3, v34
	v_mov_b32_dpp v28, v27 row_shr:1 row_mask:0xf bank_mask:0xf
	v_add_f32_e32 v28, v27, v28
	v_cndmask_b32_e64 v27, v28, v27, s[0:1]
	v_cmp_lt_u32_e64 s[0:1], 1, v34
	v_cmp_lt_u32_e64 s[8:9], 31, v33
	v_mov_b32_dpp v28, v27 row_shr:2 row_mask:0xf bank_mask:0xf
	v_add_f32_e32 v28, v27, v28
	v_cndmask_b32_e64 v28, v27, v28, s[0:1]
	; wave barrier
	s_nop 1
	v_mov_b32_dpp v29, v28 row_shr:4 row_mask:0xf bank_mask:0xf
	v_add_f32_e32 v29, v28, v29
	v_cndmask_b32_e64 v28, v28, v29, s[4:5]
	v_cmp_lt_u32_e64 s[4:5], 7, v34
	v_and_b32_e32 v34, 16, v33
	v_mov_b32_dpp v29, v28 row_shr:8 row_mask:0xf bank_mask:0xf
	v_add_f32_e32 v29, v28, v29
	v_cndmask_b32_e64 v28, v28, v29, s[4:5]
	v_cmp_eq_u32_e64 s[4:5], 0, v34
	s_nop 0
	v_mov_b32_dpp v29, v28 row_bcast:15 row_mask:0xf bank_mask:0xf
	v_add_f32_e32 v29, v28, v29
	v_cndmask_b32_e64 v28, v29, v28, s[4:5]
	v_cmp_lt_u32_e64 s[4:5], 15, v33
	s_or_b64 s[0:1], s[4:5], s[0:1]
	v_mov_b32_dpp v29, v28 row_bcast:31 row_mask:0xf bank_mask:0xf
	v_add_f32_e32 v29, v28, v29
	v_cndmask_b32_e64 v28, v28, v29, s[8:9]
	v_cndmask_b32_e64 v27, v27, v28, s[0:1]
	v_add_u32_e32 v28, -1, v33
	v_and_b32_e32 v29, 64, v33
	v_cmp_lt_i32_e64 s[0:1], v28, v29
	s_nop 1
	v_cndmask_b32_e64 v28, v28, v33, s[0:1]
	v_lshlrev_b32_e32 v28, 2, v28
	ds_bpermute_b32 v27, v28, v27
	s_waitcnt lgkmcnt(0)
	v_add_f32_e32 v26, v26, v27
	v_cndmask_b32_e64 v28, v26, v40, s[6:7]
	ds_write_b32 v32, v28
	; wave barrier
	ds_read2_b32 v[26:27], v32 offset0:1 offset1:2
	ds_read_b32 v29, v32 offset:12
	s_waitcnt lgkmcnt(1)
	v_add_f32_e32 v26, v28, v26
	v_add_f32_e32 v27, v26, v27
	ds_write2_b32 v32, v26, v27 offset0:1 offset1:2
	s_waitcnt lgkmcnt(1)
	v_add_f32_e32 v26, v27, v29
	ds_write_b32 v32, v26 offset:12
.LBB30_59:
	s_or_b64 exec, exec, s[10:11]
	s_waitcnt lgkmcnt(0)
	s_barrier
	s_and_saveexec_b64 s[0:1], s[2:3]
	s_cbranch_execz .LBB30_61
; %bb.60:
	v_add_u32_e32 v26, -1, v0
	v_lshrrev_b32_e32 v27, 5, v26
	v_add_lshl_u32 v26, v27, v26, 2
	ds_read_b32 v40, v26
.LBB30_61:
	s_or_b64 exec, exec, s[0:1]
	s_and_saveexec_b64 s[30:31], vcc
	s_cbranch_execz .LBB30_84
; %bb.62:
	v_mov_b32_e32 v37, 0
	ds_read_b32 v26, v37 offset:1048
	v_mbcnt_lo_u32_b32 v27, -1, 0
	v_mbcnt_hi_u32_b32 v29, -1, v27
	s_mov_b32 s9, 0
	v_cmp_eq_u32_e64 s[4:5], 0, v29
	s_and_saveexec_b64 s[0:1], s[4:5]
	s_cbranch_execz .LBB30_64
; %bb.63:
	s_add_i32 s8, s40, 64
	s_lshl_b64 s[8:9], s[8:9], 3
	s_add_u32 s8, s14, s8
	v_mov_b32_e32 v27, 1
	s_addc_u32 s9, s15, s9
	s_waitcnt lgkmcnt(0)
	global_store_dwordx2 v37, v[26:27], s[8:9] sc1
.LBB30_64:
	s_or_b64 exec, exec, s[0:1]
	v_xad_u32 v28, v29, -1, s40
	v_add_u32_e32 v36, 64, v28
	v_lshl_add_u64 v[32:33], v[36:37], 3, s[14:15]
	global_load_dwordx2 v[34:35], v[32:33], off sc1
	s_waitcnt vmcnt(0)
	v_cmp_eq_u16_sdwa s[8:9], v35, v37 src0_sel:BYTE_0 src1_sel:DWORD
	s_and_saveexec_b64 s[0:1], s[8:9]
	s_cbranch_execz .LBB30_70
; %bb.65:
	s_mov_b32 s10, 1
	s_mov_b64 s[8:9], 0
	v_mov_b32_e32 v27, 0
.LBB30_66:                              ; =>This Loop Header: Depth=1
                                        ;     Child Loop BB30_67 Depth 2
	s_max_u32 s11, s10, 1
.LBB30_67:                              ;   Parent Loop BB30_66 Depth=1
                                        ; =>  This Inner Loop Header: Depth=2
	s_add_i32 s11, s11, -1
	s_cmp_eq_u32 s11, 0
	s_sleep 1
	s_cbranch_scc0 .LBB30_67
; %bb.68:                               ;   in Loop: Header=BB30_66 Depth=1
	global_load_dwordx2 v[34:35], v[32:33], off sc1
	s_cmp_lt_u32 s10, 32
	s_cselect_b64 s[12:13], -1, 0
	s_cmp_lg_u64 s[12:13], 0
	s_addc_u32 s10, s10, 0
	s_waitcnt vmcnt(0)
	v_cmp_ne_u16_sdwa s[12:13], v35, v27 src0_sel:BYTE_0 src1_sel:DWORD
	s_or_b64 s[8:9], s[12:13], s[8:9]
	s_andn2_b64 exec, exec, s[8:9]
	s_cbranch_execnz .LBB30_66
; %bb.69:
	s_or_b64 exec, exec, s[8:9]
.LBB30_70:
	s_or_b64 exec, exec, s[0:1]
	v_and_b32_e32 v41, 63, v29
	v_cmp_ne_u32_e32 vcc, 63, v41
	v_mov_b32_e32 v27, 2
	v_cmp_eq_u16_sdwa s[0:1], v35, v27 src0_sel:BYTE_0 src1_sel:DWORD
	v_addc_co_u32_e32 v42, vcc, 0, v29, vcc
	v_lshlrev_b32_e32 v42, 2, v42
	v_lshlrev_b64 v[32:33], v29, -1
	ds_bpermute_b32 v43, v42, v34
	v_and_b32_e32 v36, s1, v33
	v_or_b32_e32 v36, 0x80000000, v36
	v_and_b32_e32 v37, s0, v32
	v_ffbl_b32_e32 v36, v36
	v_add_u32_e32 v36, 32, v36
	v_ffbl_b32_e32 v37, v37
	v_cmp_gt_u32_e64 s[0:1], 62, v41
	v_min_u32_e32 v36, v37, v36
	s_waitcnt lgkmcnt(0)
	v_add_f32_e32 v37, v34, v43
	v_cndmask_b32_e64 v43, 0, 1, s[0:1]
	v_cmp_lt_u32_e32 vcc, v41, v36
	v_lshlrev_b32_e32 v43, 1, v43
	v_add_lshl_u32 v43, v43, v29, 2
	v_cndmask_b32_e32 v37, v34, v37, vcc
	ds_bpermute_b32 v45, v43, v37
	v_add_u32_e32 v44, 2, v41
	v_cmp_gt_u32_e64 s[0:1], v44, v36
	v_cmp_gt_u32_e64 s[8:9], 56, v41
	v_add_u32_e32 v46, 4, v41
	s_waitcnt lgkmcnt(0)
	v_add_f32_e32 v45, v37, v45
	v_cndmask_b32_e64 v37, v45, v37, s[0:1]
	v_cmp_gt_u32_e64 s[0:1], 60, v41
	v_add_u32_e32 v48, 8, v41
	v_cmp_gt_u32_e64 s[10:11], 48, v41
	v_cndmask_b32_e64 v45, 0, 1, s[0:1]
	v_lshlrev_b32_e32 v45, 2, v45
	v_add_lshl_u32 v45, v45, v29, 2
	ds_bpermute_b32 v47, v45, v37
	v_cmp_gt_u32_e64 s[0:1], v46, v36
	v_cmp_gt_u32_e64 s[12:13], 32, v41
	v_cndmask_b32_e32 v34, v34, v37, vcc
	s_waitcnt lgkmcnt(0)
	v_add_f32_e32 v51, v37, v47
	v_cndmask_b32_e64 v47, 0, 1, s[8:9]
	v_lshlrev_b32_e32 v47, 3, v47
	v_cndmask_b32_e64 v49, v51, v37, s[0:1]
	v_add_lshl_u32 v47, v47, v29, 2
	ds_bpermute_b32 v50, v47, v49
	v_cmp_gt_u32_e64 s[8:9], v48, v36
	v_cndmask_b32_e64 v34, v51, v34, s[0:1]
	s_waitcnt lgkmcnt(0)
	v_add_f32_e32 v54, v49, v50
	v_cndmask_b32_e64 v52, v54, v49, s[8:9]
	v_cndmask_b32_e64 v49, 0, 1, s[10:11]
	v_lshlrev_b32_e32 v49, 4, v49
	v_add_lshl_u32 v49, v49, v29, 2
	ds_bpermute_b32 v53, v49, v52
	v_add_u32_e32 v50, 16, v41
	v_cmp_gt_u32_e64 s[10:11], v50, v36
	v_cndmask_b32_e64 v34, v54, v34, s[8:9]
	s_waitcnt lgkmcnt(0)
	v_add_f32_e32 v55, v52, v53
	v_cndmask_b32_e64 v56, v55, v52, s[10:11]
	v_cndmask_b32_e64 v52, 0, 1, s[12:13]
	v_lshlrev_b32_e32 v52, 5, v52
	v_add_lshl_u32 v52, v52, v29, 2
	ds_bpermute_b32 v29, v52, v56
	v_add_u32_e32 v53, 32, v41
	v_cndmask_b32_e64 v34, v55, v34, s[10:11]
	v_cmp_gt_u32_e32 vcc, v53, v36
	s_waitcnt lgkmcnt(0)
	v_add_f32_e32 v29, v56, v29
	v_cndmask_b32_e32 v34, v29, v34, vcc
	v_mov_b32_e32 v29, 0
	s_branch .LBB30_72
.LBB30_71:                              ;   in Loop: Header=BB30_72 Depth=1
	s_or_b64 exec, exec, s[0:1]
	v_cmp_eq_u16_sdwa s[0:1], v35, v27 src0_sel:BYTE_0 src1_sel:DWORD
	ds_bpermute_b32 v54, v42, v34
	v_subrev_u32_e32 v28, 64, v28
	v_and_b32_e32 v36, s1, v33
	v_or_b32_e32 v36, 0x80000000, v36
	v_and_b32_e32 v37, s0, v32
	v_ffbl_b32_e32 v36, v36
	v_add_u32_e32 v36, 32, v36
	v_ffbl_b32_e32 v37, v37
	v_min_u32_e32 v36, v37, v36
	s_waitcnt lgkmcnt(0)
	v_add_f32_e32 v37, v34, v54
	v_cmp_lt_u32_e32 vcc, v41, v36
	v_cmp_gt_u32_e64 s[0:1], v44, v36
	v_cmp_gt_u32_e64 s[8:9], v48, v36
	v_cndmask_b32_e32 v37, v34, v37, vcc
	ds_bpermute_b32 v54, v43, v37
	v_cmp_gt_u32_e64 s[10:11], v50, v36
	s_waitcnt lgkmcnt(0)
	v_add_f32_e32 v54, v37, v54
	v_cndmask_b32_e64 v37, v54, v37, s[0:1]
	ds_bpermute_b32 v54, v45, v37
	v_cmp_gt_u32_e64 s[0:1], v46, v36
	v_cndmask_b32_e32 v34, v34, v37, vcc
	v_cmp_gt_u32_e32 vcc, v53, v36
	s_waitcnt lgkmcnt(0)
	v_add_f32_e32 v54, v37, v54
	v_cndmask_b32_e64 v55, v54, v37, s[0:1]
	ds_bpermute_b32 v56, v47, v55
	v_cndmask_b32_e64 v34, v54, v34, s[0:1]
	s_waitcnt lgkmcnt(0)
	v_add_f32_e32 v56, v55, v56
	v_cndmask_b32_e64 v55, v56, v55, s[8:9]
	ds_bpermute_b32 v57, v49, v55
	v_cndmask_b32_e64 v34, v56, v34, s[8:9]
	;; [unrolled: 5-line block ×3, first 2 shown]
	s_waitcnt lgkmcnt(0)
	v_add_f32_e32 v37, v55, v58
	v_cndmask_b32_e32 v34, v37, v34, vcc
	v_add_f32_e32 v34, v51, v34
.LBB30_72:                              ; =>This Loop Header: Depth=1
                                        ;     Child Loop BB30_75 Depth 2
                                        ;       Child Loop BB30_76 Depth 3
	v_cmp_ne_u16_sdwa s[0:1], v35, v27 src0_sel:BYTE_0 src1_sel:DWORD
	v_mov_b32_e32 v51, v34
	s_nop 0
	v_cndmask_b32_e64 v35, 0, 1, s[0:1]
	;;#ASMSTART
	;;#ASMEND
	s_nop 0
	v_cmp_ne_u32_e32 vcc, 0, v35
	s_cmp_lg_u64 vcc, exec
	s_cbranch_scc1 .LBB30_79
; %bb.73:                               ;   in Loop: Header=BB30_72 Depth=1
	v_lshl_add_u64 v[36:37], v[28:29], 3, s[14:15]
	global_load_dwordx2 v[34:35], v[36:37], off sc1
	s_waitcnt vmcnt(0)
	v_cmp_eq_u16_sdwa s[8:9], v35, v29 src0_sel:BYTE_0 src1_sel:DWORD
	s_and_saveexec_b64 s[0:1], s[8:9]
	s_cbranch_execz .LBB30_71
; %bb.74:                               ;   in Loop: Header=BB30_72 Depth=1
	s_mov_b32 s10, 1
	s_mov_b64 s[8:9], 0
.LBB30_75:                              ;   Parent Loop BB30_72 Depth=1
                                        ; =>  This Loop Header: Depth=2
                                        ;       Child Loop BB30_76 Depth 3
	s_max_u32 s11, s10, 1
.LBB30_76:                              ;   Parent Loop BB30_72 Depth=1
                                        ;     Parent Loop BB30_75 Depth=2
                                        ; =>    This Inner Loop Header: Depth=3
	s_add_i32 s11, s11, -1
	s_cmp_eq_u32 s11, 0
	s_sleep 1
	s_cbranch_scc0 .LBB30_76
; %bb.77:                               ;   in Loop: Header=BB30_75 Depth=2
	global_load_dwordx2 v[34:35], v[36:37], off sc1
	s_cmp_lt_u32 s10, 32
	s_cselect_b64 s[12:13], -1, 0
	s_cmp_lg_u64 s[12:13], 0
	s_addc_u32 s10, s10, 0
	s_waitcnt vmcnt(0)
	v_cmp_ne_u16_sdwa s[12:13], v35, v29 src0_sel:BYTE_0 src1_sel:DWORD
	s_or_b64 s[8:9], s[12:13], s[8:9]
	s_andn2_b64 exec, exec, s[8:9]
	s_cbranch_execnz .LBB30_75
; %bb.78:                               ;   in Loop: Header=BB30_72 Depth=1
	s_or_b64 exec, exec, s[8:9]
	s_branch .LBB30_71
.LBB30_79:                              ;   in Loop: Header=BB30_72 Depth=1
                                        ; implicit-def: $vgpr34
                                        ; implicit-def: $vgpr35
	s_cbranch_execz .LBB30_72
; %bb.80:
	s_and_saveexec_b64 s[0:1], s[4:5]
	s_cbranch_execz .LBB30_82
; %bb.81:
	s_add_i32 s4, s40, 64
	s_mov_b32 s5, 0
	s_lshl_b64 s[4:5], s[4:5], 3
	s_add_u32 s4, s14, s4
	v_add_f32_e32 v26, v26, v51
	v_mov_b32_e32 v27, 2
	s_addc_u32 s5, s15, s5
	v_mov_b32_e32 v28, 0
	global_store_dwordx2 v28, v[26:27], s[4:5] sc1
.LBB30_82:
	s_or_b64 exec, exec, s[0:1]
	s_and_b64 exec, exec, s[6:7]
	s_cbranch_execz .LBB30_84
; %bb.83:
	v_mov_b32_e32 v26, 0
	ds_write_b32 v26, v51
.LBB30_84:
	s_or_b64 exec, exec, s[30:31]
	v_mov_b32_e32 v26, 0
	s_waitcnt lgkmcnt(0)
	s_barrier
	ds_read_b32 v26, v26
	s_waitcnt lgkmcnt(0)
	v_add_f32_e32 v27, v40, v26
	v_cndmask_b32_e64 v26, v27, v26, s[6:7]
	s_branch .LBB30_95
.LBB30_85:
                                        ; implicit-def: $vgpr26
	s_cbranch_execz .LBB30_95
; %bb.86:
	s_cmp_eq_u64 s[20:21], 0
	v_mov_b32_e32 v27, s37
	s_cbranch_scc1 .LBB30_88
; %bb.87:
	v_mov_b32_e32 v27, s39
	v_add_co_u32_e64 v26, vcc, -4, s38
	v_mov_b32_e32 v28, 0
	s_nop 0
	v_addc_co_u32_e32 v27, vcc, -1, v27, vcc
	flat_load_dword v29, v[26:27]
	global_load_dword v32, v28, s[16:17]
	s_waitcnt vmcnt(0) lgkmcnt(0)
	v_add_f32_e32 v27, v29, v32
.LBB30_88:
	v_add_f32_e32 v26, v39, v25
	v_add_f32_e32 v26, v26, v18
	v_add_f32_e32 v26, v26, v19
	v_add_f32_e32 v26, v26, v20
	v_add_f32_e32 v26, v26, v21
	v_add_f32_e32 v26, v26, v14
	v_add_f32_e32 v26, v26, v15
	v_add_f32_e32 v26, v26, v16
	v_add_f32_e32 v26, v26, v17
	v_add_f32_e32 v26, v26, v10
	v_add_f32_e32 v26, v26, v11
	v_add_f32_e32 v26, v26, v12
	v_add_f32_e32 v26, v26, v13
	v_add_f32_e32 v26, v26, v6
	v_add_f32_e32 v26, v26, v7
	v_add_f32_e32 v26, v26, v8
	v_add_f32_e32 v26, v26, v9
	v_add_f32_e32 v26, v26, v2
	v_add_f32_e32 v26, v26, v3
	v_add_f32_e32 v26, v26, v4
	v_add_f32_e32 v5, v26, v5
	v_add_lshl_u32 v26, v31, v0, 2
	v_cmp_gt_u32_e32 vcc, 64, v0
	ds_write_b32 v26, v5
	s_waitcnt lgkmcnt(0)
	s_barrier
	s_and_saveexec_b64 s[8:9], vcc
	s_cbranch_execz .LBB30_90
; %bb.89:
	v_lshrrev_b32_e32 v26, 3, v0
	v_add_lshl_u32 v26, v26, v30, 2
	ds_read2_b32 v[28:29], v26 offset1:1
	ds_read2_b32 v[32:33], v26 offset0:2 offset1:3
	v_mbcnt_lo_u32_b32 v31, -1, 0
	v_mbcnt_hi_u32_b32 v31, -1, v31
	v_and_b32_e32 v34, 15, v31
	s_waitcnt lgkmcnt(1)
	v_add_f32_e32 v29, v28, v29
	s_waitcnt lgkmcnt(0)
	v_add_f32_e32 v29, v29, v32
	v_add_f32_e32 v29, v29, v33
	v_cmp_eq_u32_e32 vcc, 0, v34
	v_cmp_lt_u32_e64 s[0:1], 3, v34
	v_mov_b32_dpp v32, v29 row_shr:1 row_mask:0xf bank_mask:0xf
	v_add_f32_e32 v32, v29, v32
	v_cndmask_b32_e32 v29, v32, v29, vcc
	v_cmp_lt_u32_e32 vcc, 1, v34
	v_cmp_lt_u32_e64 s[4:5], 31, v31
	v_mov_b32_dpp v32, v29 row_shr:2 row_mask:0xf bank_mask:0xf
	v_add_f32_e32 v32, v29, v32
	v_cndmask_b32_e32 v32, v29, v32, vcc
	; wave barrier
	s_nop 1
	v_mov_b32_dpp v33, v32 row_shr:4 row_mask:0xf bank_mask:0xf
	v_add_f32_e32 v33, v32, v33
	v_cndmask_b32_e64 v32, v32, v33, s[0:1]
	v_cmp_lt_u32_e64 s[0:1], 7, v34
	v_and_b32_e32 v34, 16, v31
	v_mov_b32_dpp v33, v32 row_shr:8 row_mask:0xf bank_mask:0xf
	v_add_f32_e32 v33, v32, v33
	v_cndmask_b32_e64 v32, v32, v33, s[0:1]
	v_cmp_eq_u32_e64 s[0:1], 0, v34
	s_nop 0
	v_mov_b32_dpp v33, v32 row_bcast:15 row_mask:0xf bank_mask:0xf
	v_add_f32_e32 v33, v32, v33
	v_cndmask_b32_e64 v32, v33, v32, s[0:1]
	v_cmp_lt_u32_e64 s[0:1], 15, v31
	s_or_b64 vcc, s[0:1], vcc
	v_mov_b32_dpp v33, v32 row_bcast:31 row_mask:0xf bank_mask:0xf
	v_add_f32_e32 v33, v32, v33
	v_cndmask_b32_e64 v32, v32, v33, s[4:5]
	v_cndmask_b32_e32 v29, v29, v32, vcc
	v_add_u32_e32 v32, -1, v31
	v_and_b32_e32 v33, 64, v31
	v_cmp_lt_i32_e32 vcc, v32, v33
	s_nop 1
	v_cndmask_b32_e32 v31, v32, v31, vcc
	v_lshlrev_b32_e32 v31, 2, v31
	ds_bpermute_b32 v29, v31, v29
	s_waitcnt lgkmcnt(0)
	v_add_f32_e32 v28, v28, v29
	v_cndmask_b32_e64 v5, v28, v5, s[6:7]
	ds_write_b32 v26, v5
	; wave barrier
	ds_read2_b32 v[28:29], v26 offset0:1 offset1:2
	ds_read_b32 v31, v26 offset:12
	s_waitcnt lgkmcnt(1)
	v_add_f32_e32 v5, v5, v28
	v_add_f32_e32 v28, v5, v29
	ds_write2_b32 v26, v5, v28 offset0:1 offset1:2
	s_waitcnt lgkmcnt(1)
	v_add_f32_e32 v5, v28, v31
	ds_write_b32 v26, v5 offset:12
.LBB30_90:
	s_or_b64 exec, exec, s[8:9]
	v_mov_b32_e32 v26, v27
	s_waitcnt lgkmcnt(0)
	s_barrier
	s_and_saveexec_b64 s[0:1], s[2:3]
	s_cbranch_execz .LBB30_92
; %bb.91:
	v_add_u32_e32 v5, -1, v0
	v_lshrrev_b32_e32 v26, 5, v5
	v_add_lshl_u32 v5, v26, v5, 2
	ds_read_b32 v5, v5
	s_waitcnt lgkmcnt(0)
	v_add_f32_e32 v26, v27, v5
.LBB30_92:
	s_or_b64 exec, exec, s[0:1]
	s_and_saveexec_b64 s[0:1], s[6:7]
	s_cbranch_execz .LBB30_94
; %bb.93:
	v_mov_b32_e32 v5, 0
	ds_read_b32 v28, v5 offset:1048
	v_mov_b32_e32 v29, 2
	s_waitcnt lgkmcnt(0)
	v_add_f32_e32 v28, v27, v28
	global_store_dwordx2 v5, v[28:29], s[14:15] offset:512 sc1
.LBB30_94:
	s_or_b64 exec, exec, s[0:1]
.LBB30_95:
	v_add_f32_e32 v27, v22, v26
	v_add_f32_e32 v28, v23, v27
	;; [unrolled: 1-line block ×19, first 2 shown]
	s_add_u32 s0, s28, s34
	v_add_f32_e32 v6, v9, v13
	s_addc_u32 s1, s29, s35
	v_add_f32_e32 v7, v2, v6
	v_add_f32_e32 v8, v3, v7
	s_add_u32 s0, s0, s26
	v_add_f32_e32 v9, v4, v8
	s_addc_u32 s1, s1, s27
	s_mov_b64 s[2:3], -1
	s_and_b64 vcc, exec, s[24:25]
	s_barrier
	s_cbranch_vccz .LBB30_97
; %bb.96:
	v_mov_b32_e32 v31, 0
	ds_write_b128 v1, v[26:29]
	ds_write_b128 v1, v[22:25] offset:16
	ds_write_b128 v1, v[18:21] offset:32
	ds_write_b128 v1, v[14:17] offset:48
	ds_write_b128 v1, v[10:13] offset:64
	ds_write_b128 v1, v[6:9] offset:80
	s_waitcnt lgkmcnt(0)
	s_barrier
	ds_read2st64_b32 v[2:3], v30 offset1:4
	ds_read2st64_b32 v[4:5], v30 offset0:8 offset1:12
	ds_read2st64_b32 v[32:33], v30 offset0:16 offset1:20
	ds_read2st64_b32 v[34:35], v30 offset0:24 offset1:28
	ds_read2st64_b32 v[36:37], v30 offset0:32 offset1:36
	ds_read2st64_b32 v[40:41], v30 offset0:40 offset1:44
	ds_read2st64_b32 v[42:43], v30 offset0:48 offset1:52
	ds_read2st64_b32 v[44:45], v30 offset0:56 offset1:60
	ds_read2st64_b32 v[46:47], v30 offset0:64 offset1:68
	ds_read2st64_b32 v[48:49], v30 offset0:72 offset1:76
	ds_read2st64_b32 v[50:51], v30 offset0:80 offset1:84
	ds_read2st64_b32 v[52:53], v30 offset0:88 offset1:92
	v_lshl_add_u64 v[54:55], s[0:1], 0, v[30:31]
	s_movk_i32 s2, 0x1000
	s_waitcnt lgkmcnt(11)
	flat_store_dword v[54:55], v2
	flat_store_dword v[54:55], v3 offset:1024
	s_waitcnt lgkmcnt(0)
	flat_store_dword v[54:55], v4 offset:2048
	flat_store_dword v[54:55], v5 offset:3072
	v_add_co_u32_e32 v2, vcc, s2, v54
	s_movk_i32 s2, 0x2000
	s_nop 0
	v_addc_co_u32_e32 v3, vcc, 0, v55, vcc
	flat_store_dword v[2:3], v32
	flat_store_dword v[2:3], v33 offset:1024
	flat_store_dword v[2:3], v34 offset:2048
	flat_store_dword v[2:3], v35 offset:3072
	v_add_co_u32_e32 v2, vcc, s2, v54
	s_movk_i32 s2, 0x3000
	s_nop 0
	v_addc_co_u32_e32 v3, vcc, 0, v55, vcc
	flat_store_dword v[2:3], v36
	flat_store_dword v[2:3], v37 offset:1024
	;; [unrolled: 8-line block ×3, first 2 shown]
	flat_store_dword v[2:3], v44 offset:2048
	flat_store_dword v[2:3], v45 offset:3072
	v_add_co_u32_e32 v2, vcc, s2, v54
	s_mov_b64 s[2:3], 0
	s_nop 0
	v_addc_co_u32_e32 v3, vcc, 0, v55, vcc
	flat_store_dword v[2:3], v46
	flat_store_dword v[2:3], v47 offset:1024
	flat_store_dword v[2:3], v48 offset:2048
	;; [unrolled: 1-line block ×3, first 2 shown]
	v_add_co_u32_e32 v2, vcc, 0x5000, v54
	s_nop 1
	v_addc_co_u32_e32 v3, vcc, 0, v55, vcc
	flat_store_dword v[2:3], v50
	flat_store_dword v[2:3], v51 offset:1024
	flat_store_dword v[2:3], v52 offset:2048
	;; [unrolled: 1-line block ×3, first 2 shown]
.LBB30_97:
	s_andn2_b64 vcc, exec, s[2:3]
	s_cbranch_vccnz .LBB30_154
; %bb.98:
	s_movk_i32 s2, 0xffa4
	ds_write_b128 v1, v[26:29]
	ds_write_b128 v1, v[22:25] offset:16
	ds_write_b128 v1, v[18:21] offset:32
	;; [unrolled: 1-line block ×5, first 2 shown]
	v_mad_i32_i24 v1, v0, s2, v1
	s_waitcnt lgkmcnt(0)
	s_barrier
	ds_read2st64_b32 v[2:3], v1 offset1:4
	ds_read2st64_b32 v[4:5], v1 offset0:8 offset1:12
	ds_read2st64_b32 v[6:7], v1 offset0:16 offset1:20
	;; [unrolled: 1-line block ×11, first 2 shown]
	v_mov_b32_e32 v31, 0
	v_lshl_add_u64 v[26:27], s[0:1], 0, v[30:31]
	v_cmp_gt_u32_e32 vcc, s33, v0
	s_and_saveexec_b64 s[0:1], vcc
	s_cbranch_execz .LBB30_100
; %bb.99:
	s_waitcnt lgkmcnt(0)
	flat_store_dword v[26:27], v2
.LBB30_100:
	s_or_b64 exec, exec, s[0:1]
	v_or_b32_e32 v1, 0x100, v0
	v_cmp_gt_u32_e32 vcc, s33, v1
	s_and_saveexec_b64 s[0:1], vcc
	s_cbranch_execz .LBB30_102
; %bb.101:
	s_waitcnt lgkmcnt(0)
	flat_store_dword v[26:27], v3 offset:1024
.LBB30_102:
	s_or_b64 exec, exec, s[0:1]
	v_or_b32_e32 v1, 0x200, v0
	v_cmp_gt_u32_e32 vcc, s33, v1
	s_and_saveexec_b64 s[0:1], vcc
	s_cbranch_execz .LBB30_104
; %bb.103:
	s_waitcnt lgkmcnt(0)
	flat_store_dword v[26:27], v4 offset:2048
.LBB30_104:
	;; [unrolled: 9-line block ×3, first 2 shown]
	s_or_b64 exec, exec, s[0:1]
	v_or_b32_e32 v1, 0x400, v0
	v_cmp_gt_u32_e32 vcc, s33, v1
	s_and_saveexec_b64 s[0:1], vcc
	s_cbranch_execz .LBB30_108
; %bb.107:
	v_add_co_u32_e32 v28, vcc, 0x1000, v26
	s_nop 1
	v_addc_co_u32_e32 v29, vcc, 0, v27, vcc
	s_waitcnt lgkmcnt(0)
	flat_store_dword v[28:29], v6
.LBB30_108:
	s_or_b64 exec, exec, s[0:1]
	v_or_b32_e32 v1, 0x500, v0
	v_cmp_gt_u32_e32 vcc, s33, v1
	s_and_saveexec_b64 s[0:1], vcc
	s_cbranch_execz .LBB30_110
; %bb.109:
	v_add_co_u32_e32 v28, vcc, 0x1000, v26
	s_nop 1
	v_addc_co_u32_e32 v29, vcc, 0, v27, vcc
	s_waitcnt lgkmcnt(0)
	flat_store_dword v[28:29], v7 offset:1024
.LBB30_110:
	s_or_b64 exec, exec, s[0:1]
	v_or_b32_e32 v1, 0x600, v0
	v_cmp_gt_u32_e32 vcc, s33, v1
	s_and_saveexec_b64 s[0:1], vcc
	s_cbranch_execz .LBB30_112
; %bb.111:
	v_add_co_u32_e32 v28, vcc, 0x1000, v26
	s_nop 1
	v_addc_co_u32_e32 v29, vcc, 0, v27, vcc
	s_waitcnt lgkmcnt(0)
	flat_store_dword v[28:29], v16 offset:2048
.LBB30_112:
	s_or_b64 exec, exec, s[0:1]
	v_or_b32_e32 v1, 0x700, v0
	v_cmp_gt_u32_e32 vcc, s33, v1
	s_and_saveexec_b64 s[0:1], vcc
	s_cbranch_execz .LBB30_114
; %bb.113:
	v_add_co_u32_e32 v28, vcc, 0x1000, v26
	s_nop 1
	v_addc_co_u32_e32 v29, vcc, 0, v27, vcc
	s_waitcnt lgkmcnt(0)
	flat_store_dword v[28:29], v17 offset:3072
.LBB30_114:
	s_or_b64 exec, exec, s[0:1]
	v_or_b32_e32 v1, 0x800, v0
	v_cmp_gt_u32_e32 vcc, s33, v1
	s_and_saveexec_b64 s[0:1], vcc
	s_cbranch_execz .LBB30_116
; %bb.115:
	v_add_co_u32_e32 v28, vcc, 0x2000, v26
	s_nop 1
	v_addc_co_u32_e32 v29, vcc, 0, v27, vcc
	s_waitcnt lgkmcnt(0)
	flat_store_dword v[28:29], v14
.LBB30_116:
	s_or_b64 exec, exec, s[0:1]
	v_or_b32_e32 v1, 0x900, v0
	v_cmp_gt_u32_e32 vcc, s33, v1
	s_and_saveexec_b64 s[0:1], vcc
	s_cbranch_execz .LBB30_118
; %bb.117:
	v_add_co_u32_e32 v28, vcc, 0x2000, v26
	s_nop 1
	v_addc_co_u32_e32 v29, vcc, 0, v27, vcc
	s_waitcnt lgkmcnt(0)
	flat_store_dword v[28:29], v15 offset:1024
.LBB30_118:
	s_or_b64 exec, exec, s[0:1]
	v_or_b32_e32 v1, 0xa00, v0
	v_cmp_gt_u32_e32 vcc, s33, v1
	s_and_saveexec_b64 s[0:1], vcc
	s_cbranch_execz .LBB30_120
; %bb.119:
	v_add_co_u32_e32 v28, vcc, 0x2000, v26
	s_nop 1
	v_addc_co_u32_e32 v29, vcc, 0, v27, vcc
	s_waitcnt lgkmcnt(0)
	flat_store_dword v[28:29], v18 offset:2048
.LBB30_120:
	s_or_b64 exec, exec, s[0:1]
	v_or_b32_e32 v1, 0xb00, v0
	v_cmp_gt_u32_e32 vcc, s33, v1
	s_and_saveexec_b64 s[0:1], vcc
	s_cbranch_execz .LBB30_122
; %bb.121:
	v_add_co_u32_e32 v28, vcc, 0x2000, v26
	s_nop 1
	v_addc_co_u32_e32 v29, vcc, 0, v27, vcc
	s_waitcnt lgkmcnt(0)
	flat_store_dword v[28:29], v19 offset:3072
.LBB30_122:
	;; [unrolled: 48-line block ×5, first 2 shown]
	s_or_b64 exec, exec, s[0:1]
	v_cmp_lt_u64_e64 s[0:1], s[22:23], 2
	s_and_b64 vcc, exec, s[0:1]
	s_cbranch_vccnz .LBB30_154
; %bb.147:
	s_add_u32 s0, s33, -1
	s_addc_u32 s1, s36, -1
	s_add_u32 s2, 0, 0xaaaa0000
	s_addc_u32 s3, 0, 42
	s_add_i32 s3, s3, 0xaaaaa80
	s_mul_hi_u32 s7, s2, 0xffffffe8
	s_sub_i32 s7, s7, s2
	s_mul_i32 s8, s3, 0xffffffe8
	s_mul_i32 s4, s2, 0xffffffe8
	s_add_i32 s7, s7, s8
	s_mul_hi_u32 s5, s3, s4
	s_mul_i32 s6, s3, s4
	s_mul_i32 s9, s2, s7
	s_mul_hi_u32 s4, s2, s4
	s_mul_hi_u32 s8, s2, s7
	s_add_u32 s4, s4, s9
	s_addc_u32 s8, 0, s8
	s_add_u32 s4, s4, s6
	s_mul_hi_u32 s9, s3, s7
	s_addc_u32 s4, s8, s5
	s_addc_u32 s5, s9, 0
	s_mul_i32 s6, s3, s7
	s_add_u32 s4, s4, s6
	v_mov_b32_e32 v26, s4
	s_addc_u32 s5, 0, s5
	v_add_co_u32_e32 v26, vcc, s2, v26
	s_cmp_lg_u64 vcc, 0
	s_addc_u32 s2, s3, s5
	v_readfirstlane_b32 s5, v26
	s_mul_i32 s4, s0, s2
	s_mul_hi_u32 s6, s0, s5
	s_mul_hi_u32 s3, s0, s2
	s_add_u32 s4, s6, s4
	s_addc_u32 s3, 0, s3
	s_mul_hi_u32 s7, s1, s5
	s_mul_i32 s5, s1, s5
	s_add_u32 s4, s4, s5
	s_mul_hi_u32 s6, s1, s2
	s_addc_u32 s3, s3, s7
	s_addc_u32 s4, s6, 0
	s_mul_i32 s2, s1, s2
	s_add_u32 s2, s3, s2
	s_addc_u32 s3, 0, s4
	s_add_u32 s4, s2, 1
	s_addc_u32 s5, s3, 0
	s_add_u32 s6, s2, 2
	s_mul_i32 s8, s3, 24
	s_mul_hi_u32 s9, s2, 24
	s_addc_u32 s7, s3, 0
	s_add_i32 s9, s9, s8
	s_mul_i32 s8, s2, 24
	v_mov_b32_e32 v26, s8
	v_sub_co_u32_e32 v26, vcc, s0, v26
	s_cmp_lg_u64 vcc, 0
	s_subb_u32 s8, s1, s9
	v_subrev_co_u32_e32 v27, vcc, 24, v26
	s_cmp_lg_u64 vcc, 0
	s_subb_u32 s9, s8, 0
	v_readfirstlane_b32 s10, v27
	s_cmp_gt_u32 s10, 23
	s_cselect_b32 s10, -1, 0
	s_cmp_eq_u32 s9, 0
	s_cselect_b32 s9, s10, -1
	s_cmp_lg_u32 s9, 0
	s_cselect_b32 s4, s6, s4
	v_readfirstlane_b32 s6, v26
	s_cselect_b32 s5, s7, s5
	s_cmp_gt_u32 s6, 23
	s_cselect_b32 s6, -1, 0
	s_cmp_eq_u32 s8, 0
	s_cselect_b32 s6, s6, -1
	s_cmp_lg_u32 s6, 0
	v_mov_b32_e32 v1, v31
	s_cselect_b32 s3, s5, s3
	s_cselect_b32 s2, s4, s2
	v_cmp_eq_u64_e32 vcc, s[2:3], v[0:1]
	s_and_saveexec_b64 s[2:3], vcc
	s_cbranch_execz .LBB30_154
; %bb.148:
	v_mul_hi_u32_u24_e32 v1, 24, v0
	v_mov_b32_e32 v26, s1
	v_sub_co_u32_e32 v0, vcc, s0, v38
	s_mov_b64 s[0:1], 0
	s_nop 0
	v_subb_co_u32_e32 v1, vcc, v26, v1, vcc
	v_cmp_lt_i64_e32 vcc, 11, v[0:1]
	s_mov_b64 s[8:9], 0
	s_mov_b64 s[6:7], 0
	;; [unrolled: 1-line block ×3, first 2 shown]
	s_and_saveexec_b64 s[2:3], vcc
	s_xor_b64 s[2:3], exec, s[2:3]
	s_cbranch_execnz .LBB30_155
; %bb.149:
	s_andn2_saveexec_b64 s[2:3], s[2:3]
	s_cbranch_execnz .LBB30_200
.LBB30_150:
	s_or_b64 exec, exec, s[2:3]
	s_and_saveexec_b64 s[2:3], s[8:9]
	s_cbranch_execnz .LBB30_215
.LBB30_151:
	s_or_b64 exec, exec, s[2:3]
	s_and_saveexec_b64 s[2:3], s[6:7]
	s_cbranch_execnz .LBB30_216
.LBB30_152:
	s_or_b64 exec, exec, s[2:3]
	s_and_saveexec_b64 s[2:3], s[4:5]
	s_xor_b64 s[2:3], exec, s[2:3]
	s_cbranch_execnz .LBB30_217
.LBB30_153:
	s_or_b64 exec, exec, s[2:3]
	s_and_b64 exec, exec, s[0:1]
	s_cbranch_execnz .LBB30_218
.LBB30_154:
	s_endpgm
.LBB30_155:
	v_cmp_lt_i64_e32 vcc, 17, v[0:1]
	s_and_saveexec_b64 s[10:11], vcc
	s_xor_b64 s[10:11], exec, s[10:11]
	s_cbranch_execz .LBB30_177
; %bb.156:
	v_cmp_lt_i64_e32 vcc, 20, v[0:1]
                                        ; implicit-def: $vgpr9
	s_and_saveexec_b64 s[12:13], vcc
	s_xor_b64 s[12:13], exec, s[12:13]
	s_cbranch_execz .LBB30_166
; %bb.157:
	v_cmp_lt_i64_e32 vcc, 21, v[0:1]
	s_mov_b64 s[14:15], 0
                                        ; implicit-def: $vgpr9
	s_and_saveexec_b64 s[4:5], vcc
	s_xor_b64 s[4:5], exec, s[4:5]
	s_cbranch_execz .LBB30_163
; %bb.158:
	v_cmp_lt_i64_e32 vcc, 22, v[0:1]
	s_and_saveexec_b64 s[14:15], vcc
	s_xor_b64 s[14:15], exec, s[14:15]
	s_cbranch_execz .LBB30_160
; %bb.159:
	s_waitcnt lgkmcnt(0)
	v_mov_b32_e32 v8, 0
	global_store_dword v8, v25, s[18:19]
                                        ; implicit-def: $vgpr24
.LBB30_160:
	s_or_saveexec_b64 s[14:15], s[14:15]
	s_mov_b64 s[16:17], 0
	s_xor_b64 exec, exec, s[14:15]
; %bb.161:
	s_mov_b64 s[16:17], exec
; %bb.162:
	s_or_b64 exec, exec, s[14:15]
	s_and_b64 s[14:15], s[16:17], exec
	s_waitcnt lgkmcnt(0)
	v_mov_b32_e32 v9, v24
                                        ; implicit-def: $vgpr11
.LBB30_163:
	s_andn2_saveexec_b64 s[4:5], s[4:5]
; %bb.164:
	s_mov_b64 s[6:7], exec
                                        ; implicit-def: $vgpr9
; %bb.165:
	s_or_b64 exec, exec, s[4:5]
	s_and_b64 s[4:5], s[14:15], exec
	s_and_b64 s[6:7], s[6:7], exec
                                        ; implicit-def: $vgpr20_vgpr21
.LBB30_166:
	s_andn2_saveexec_b64 s[12:13], s[12:13]
	s_cbranch_execz .LBB30_176
; %bb.167:
	v_cmp_lt_i64_e32 vcc, 18, v[0:1]
	s_mov_b64 s[14:15], 0
	s_and_saveexec_b64 s[8:9], vcc
	s_xor_b64 s[8:9], exec, s[8:9]
	s_cbranch_execz .LBB30_173
; %bb.168:
	v_cmp_lt_i64_e32 vcc, 19, v[0:1]
	s_and_saveexec_b64 s[16:17], vcc
	s_xor_b64 s[16:17], exec, s[16:17]
; %bb.169:
	s_mov_b64 s[14:15], exec
                                        ; implicit-def: $vgpr20_vgpr21
; %bb.170:
	s_andn2_saveexec_b64 s[16:17], s[16:17]
	s_cbranch_execz .LBB30_172
; %bb.171:
	s_waitcnt lgkmcnt(0)
	v_mov_b32_e32 v8, 0
	global_store_dword v8, v21, s[18:19]
                                        ; implicit-def: $vgpr10
.LBB30_172:
	s_or_b64 exec, exec, s[16:17]
	s_and_b64 s[14:15], s[14:15], exec
                                        ; implicit-def: $vgpr20_vgpr21
.LBB30_173:
	s_andn2_saveexec_b64 s[8:9], s[8:9]
	s_cbranch_execz .LBB30_175
; %bb.174:
	s_waitcnt lgkmcnt(0)
	v_mov_b32_e32 v8, 0
	global_store_dword v8, v20, s[18:19]
                                        ; implicit-def: $vgpr10
.LBB30_175:
	s_or_b64 exec, exec, s[8:9]
	s_and_b64 s[8:9], s[14:15], exec
                                        ; implicit-def: $vgpr9
.LBB30_176:
	s_or_b64 exec, exec, s[12:13]
	s_and_b64 s[4:5], s[4:5], exec
	s_and_b64 s[6:7], s[6:7], exec
	;; [unrolled: 1-line block ×3, first 2 shown]
                                        ; implicit-def: $vgpr12
                                        ; implicit-def: $vgpr22_vgpr23
.LBB30_177:
	s_andn2_saveexec_b64 s[10:11], s[10:11]
	s_cbranch_execz .LBB30_199
; %bb.178:
	v_cmp_lt_i64_e32 vcc, 14, v[0:1]
	s_mov_b64 s[12:13], s[4:5]
	s_and_saveexec_b64 s[14:15], vcc
	s_xor_b64 s[14:15], exec, s[14:15]
	s_cbranch_execz .LBB30_188
; %bb.179:
	v_cmp_lt_i64_e32 vcc, 15, v[0:1]
	s_and_saveexec_b64 s[12:13], vcc
	s_xor_b64 s[12:13], exec, s[12:13]
	s_cbranch_execz .LBB30_185
; %bb.180:
	v_cmp_lt_i64_e32 vcc, 16, v[0:1]
	s_and_saveexec_b64 s[16:17], vcc
	s_xor_b64 s[16:17], exec, s[16:17]
	s_cbranch_execz .LBB30_182
; %bb.181:
	s_waitcnt lgkmcnt(0)
	v_mov_b32_e32 v8, 0
	global_store_dword v8, v23, s[18:19]
                                        ; implicit-def: $vgpr22_vgpr23
.LBB30_182:
	s_andn2_saveexec_b64 s[16:17], s[16:17]
	s_cbranch_execz .LBB30_184
; %bb.183:
	s_waitcnt lgkmcnt(0)
	v_mov_b32_e32 v8, 0
	global_store_dword v8, v22, s[18:19]
.LBB30_184:
	s_or_b64 exec, exec, s[16:17]
                                        ; implicit-def: $vgpr9
.LBB30_185:
	s_or_saveexec_b64 s[12:13], s[12:13]
	s_mov_b64 s[16:17], s[4:5]
	s_xor_b64 exec, exec, s[12:13]
; %bb.186:
	s_or_b64 s[16:17], s[4:5], exec
; %bb.187:
	s_or_b64 exec, exec, s[12:13]
	s_andn2_b64 s[12:13], s[4:5], exec
	s_and_b64 s[16:17], s[16:17], exec
	s_or_b64 s[12:13], s[12:13], s[16:17]
                                        ; implicit-def: $vgpr12
.LBB30_188:
	s_or_saveexec_b64 s[14:15], s[14:15]
	s_mov_b64 s[16:17], s[6:7]
                                        ; implicit-def: $vgpr11
	s_xor_b64 exec, exec, s[14:15]
	s_cbranch_execz .LBB30_198
; %bb.189:
	v_cmp_lt_i64_e32 vcc, 12, v[0:1]
	s_mov_b64 s[20:21], s[6:7]
	s_mov_b64 s[22:23], s[12:13]
                                        ; implicit-def: $vgpr11
	s_and_saveexec_b64 s[16:17], vcc
	s_xor_b64 s[16:17], exec, s[16:17]
	s_cbranch_execz .LBB30_195
; %bb.190:
	v_cmp_lt_i64_e32 vcc, 13, v[0:1]
	s_mov_b64 s[20:21], s[12:13]
	s_and_saveexec_b64 s[22:23], vcc
	s_xor_b64 s[22:23], exec, s[22:23]
; %bb.191:
	s_or_b64 s[20:21], s[12:13], exec
                                        ; implicit-def: $vgpr13
; %bb.192:
	s_or_saveexec_b64 s[22:23], s[22:23]
	s_mov_b64 s[24:25], s[6:7]
	s_xor_b64 exec, exec, s[22:23]
; %bb.193:
	s_or_b64 s[24:25], s[6:7], exec
                                        ; implicit-def: $vgpr8
; %bb.194:
	s_or_b64 exec, exec, s[22:23]
	s_andn2_b64 s[22:23], s[12:13], exec
	s_and_b64 s[20:21], s[20:21], exec
	s_or_b64 s[22:23], s[22:23], s[20:21]
	s_andn2_b64 s[20:21], s[6:7], exec
	s_and_b64 s[24:25], s[24:25], exec
	s_or_b64 s[20:21], s[20:21], s[24:25]
	s_waitcnt lgkmcnt(0)
	v_mov_b32_e32 v9, v8
	v_mov_b32_e32 v11, v13
                                        ; implicit-def: $vgpr12
.LBB30_195:
	s_andn2_saveexec_b64 s[16:17], s[16:17]
	s_cbranch_execz .LBB30_197
; %bb.196:
	s_or_b64 s[20:21], s[20:21], exec
                                        ; implicit-def: $vgpr9
	s_waitcnt lgkmcnt(0)
	v_mov_b32_e32 v11, v12
.LBB30_197:
	s_or_b64 exec, exec, s[16:17]
	s_andn2_b64 s[12:13], s[12:13], exec
	s_and_b64 s[16:17], s[22:23], exec
	s_or_b64 s[12:13], s[12:13], s[16:17]
	s_andn2_b64 s[16:17], s[6:7], exec
	s_and_b64 s[20:21], s[20:21], exec
	s_or_b64 s[16:17], s[16:17], s[20:21]
.LBB30_198:
	s_or_b64 exec, exec, s[14:15]
	s_andn2_b64 s[4:5], s[4:5], exec
	s_and_b64 s[12:13], s[12:13], exec
	s_or_b64 s[4:5], s[4:5], s[12:13]
	s_andn2_b64 s[6:7], s[6:7], exec
	s_and_b64 s[12:13], s[16:17], exec
	s_or_b64 s[6:7], s[6:7], s[12:13]
.LBB30_199:
	s_or_b64 exec, exec, s[10:11]
	s_and_b64 s[4:5], s[4:5], exec
	s_and_b64 s[6:7], s[6:7], exec
	;; [unrolled: 1-line block ×3, first 2 shown]
                                        ; implicit-def: $vgpr16
                                        ; implicit-def: $vgpr14
                                        ; implicit-def: $vgpr18
	s_andn2_saveexec_b64 s[2:3], s[2:3]
	s_cbranch_execz .LBB30_150
.LBB30_200:
	v_cmp_lt_i64_e32 vcc, 5, v[0:1]
	s_mov_b64 s[12:13], -1
	s_mov_b64 s[10:11], s[8:9]
	s_mov_b64 s[14:15], s[6:7]
	;; [unrolled: 1-line block ×3, first 2 shown]
                                        ; implicit-def: $vgpr9
                                        ; implicit-def: $vgpr11
	s_and_saveexec_b64 s[0:1], vcc
	s_cbranch_execz .LBB30_214
; %bb.201:
	v_cmp_lt_i64_e32 vcc, 8, v[0:1]
	s_mov_b64 s[10:11], s[8:9]
                                        ; implicit-def: $vgpr10
	s_and_saveexec_b64 s[12:13], vcc
	s_xor_b64 s[12:13], exec, s[12:13]
	s_cbranch_execz .LBB30_209
; %bb.202:
	v_cmp_lt_i64_e32 vcc, 9, v[0:1]
	s_and_saveexec_b64 s[10:11], vcc
	s_xor_b64 s[10:11], exec, s[10:11]
	s_cbranch_execz .LBB30_206
; %bb.203:
	v_cmp_lt_i64_e32 vcc, 10, v[0:1]
	s_and_saveexec_b64 s[14:15], vcc
	s_xor_b64 s[14:15], exec, s[14:15]
	s_andn2_saveexec_b64 s[14:15], s[14:15]
	s_cbranch_execz .LBB30_205
; %bb.204:
	s_waitcnt lgkmcnt(0)
	v_mov_b32_e32 v19, v18
.LBB30_205:
	s_or_b64 exec, exec, s[14:15]
                                        ; implicit-def: $vgpr15
.LBB30_206:
	s_andn2_saveexec_b64 s[10:11], s[10:11]
	s_cbranch_execz .LBB30_208
; %bb.207:
	s_waitcnt lgkmcnt(0)
	v_mov_b32_e32 v19, v15
.LBB30_208:
	s_or_b64 exec, exec, s[10:11]
	s_or_b64 s[10:11], s[8:9], exec
	s_waitcnt lgkmcnt(0)
	v_mov_b32_e32 v10, v19
                                        ; implicit-def: $vgpr16
                                        ; implicit-def: $vgpr14
.LBB30_209:
	s_or_saveexec_b64 s[12:13], s[12:13]
	s_mov_b64 s[14:15], s[6:7]
	s_mov_b64 s[20:21], s[4:5]
                                        ; implicit-def: $vgpr9
	s_xor_b64 exec, exec, s[12:13]
	s_cbranch_execz .LBB30_213
; %bb.210:
	v_cmp_lt_i64_e32 vcc, 6, v[0:1]
	s_mov_b64 s[20:21], -1
	s_mov_b64 s[16:17], s[10:11]
	s_mov_b64 s[14:15], s[6:7]
	s_and_saveexec_b64 s[22:23], vcc
; %bb.211:
	v_cmp_lt_i64_e32 vcc, 7, v[0:1]
	s_andn2_b64 s[16:17], s[10:11], exec
	s_and_b64 s[24:25], vcc, exec
	s_xor_b64 s[20:21], exec, -1
	s_or_b64 s[14:15], s[6:7], exec
	s_or_b64 s[16:17], s[16:17], s[24:25]
; %bb.212:
	s_or_b64 exec, exec, s[22:23]
	s_andn2_b64 s[22:23], s[4:5], exec
	s_and_b64 s[20:21], s[20:21], exec
	s_or_b64 s[20:21], s[22:23], s[20:21]
	s_andn2_b64 s[22:23], s[6:7], exec
	s_and_b64 s[14:15], s[14:15], exec
	s_andn2_b64 s[10:11], s[10:11], exec
	s_and_b64 s[16:17], s[16:17], exec
	s_or_b64 s[14:15], s[22:23], s[14:15]
	s_or_b64 s[10:11], s[10:11], s[16:17]
	s_waitcnt lgkmcnt(0)
	v_mov_b32_e32 v9, v16
	v_mov_b32_e32 v11, v17
	;; [unrolled: 1-line block ×3, first 2 shown]
.LBB30_213:
	s_or_b64 exec, exec, s[12:13]
	s_andn2_b64 s[16:17], s[4:5], exec
	s_and_b64 s[20:21], s[20:21], exec
	s_or_b64 s[16:17], s[16:17], s[20:21]
	s_andn2_b64 s[20:21], s[6:7], exec
	s_and_b64 s[14:15], s[14:15], exec
	s_or_b64 s[14:15], s[20:21], s[14:15]
	s_andn2_b64 s[20:21], s[8:9], exec
	s_and_b64 s[10:11], s[10:11], exec
	s_xor_b64 s[12:13], exec, -1
	s_or_b64 s[10:11], s[20:21], s[10:11]
.LBB30_214:
	s_or_b64 exec, exec, s[0:1]
	s_and_b64 s[0:1], s[12:13], exec
	s_andn2_b64 s[4:5], s[4:5], exec
	s_and_b64 s[12:13], s[16:17], exec
	s_or_b64 s[4:5], s[4:5], s[12:13]
	s_andn2_b64 s[6:7], s[6:7], exec
	s_and_b64 s[12:13], s[14:15], exec
	s_andn2_b64 s[8:9], s[8:9], exec
	s_and_b64 s[10:11], s[10:11], exec
	s_or_b64 s[6:7], s[6:7], s[12:13]
	s_or_b64 s[8:9], s[8:9], s[10:11]
	s_or_b64 exec, exec, s[2:3]
	s_and_saveexec_b64 s[2:3], s[8:9]
	s_cbranch_execz .LBB30_151
.LBB30_215:
	s_waitcnt lgkmcnt(0)
	v_mov_b32_e32 v8, 0
	s_andn2_b64 s[6:7], s[6:7], exec
	global_store_dword v8, v10, s[18:19]
                                        ; implicit-def: $vgpr9
                                        ; implicit-def: $vgpr11
	s_or_b64 exec, exec, s[2:3]
	s_and_saveexec_b64 s[2:3], s[6:7]
	s_cbranch_execz .LBB30_152
.LBB30_216:
	s_waitcnt lgkmcnt(0)
	v_mov_b32_e32 v8, 0
	global_store_dword v8, v11, s[18:19]
                                        ; implicit-def: $vgpr9
	s_or_b64 exec, exec, s[2:3]
	s_and_saveexec_b64 s[2:3], s[4:5]
	s_xor_b64 s[2:3], exec, s[2:3]
	s_cbranch_execz .LBB30_153
.LBB30_217:
	s_waitcnt lgkmcnt(0)
	v_mov_b32_e32 v8, 0
	global_store_dword v8, v9, s[18:19]
	s_or_b64 exec, exec, s[2:3]
	s_and_b64 exec, exec, s[0:1]
	s_cbranch_execz .LBB30_154
.LBB30_218:
	v_cmp_lt_i64_e32 vcc, 2, v[0:1]
	s_and_saveexec_b64 s[0:1], vcc
	s_xor_b64 s[0:1], exec, s[0:1]
	s_cbranch_execz .LBB30_228
; %bb.219:
	v_cmp_lt_i64_e32 vcc, 3, v[0:1]
	s_and_saveexec_b64 s[2:3], vcc
	s_xor_b64 s[2:3], exec, s[2:3]
	s_cbranch_execz .LBB30_225
; %bb.220:
	v_cmp_lt_i64_e32 vcc, 4, v[0:1]
	s_and_saveexec_b64 s[4:5], vcc
	s_xor_b64 s[4:5], exec, s[4:5]
	s_cbranch_execz .LBB30_222
; %bb.221:
	v_mov_b32_e32 v0, 0
	s_waitcnt lgkmcnt(0)
	global_store_dword v0, v7, s[18:19]
                                        ; implicit-def: $vgpr6_vgpr7
.LBB30_222:
	s_andn2_saveexec_b64 s[4:5], s[4:5]
	s_cbranch_execz .LBB30_224
; %bb.223:
	v_mov_b32_e32 v0, 0
	s_waitcnt lgkmcnt(0)
	global_store_dword v0, v6, s[18:19]
.LBB30_224:
	s_or_b64 exec, exec, s[4:5]
                                        ; implicit-def: $vgpr4_vgpr5
.LBB30_225:
	s_andn2_saveexec_b64 s[2:3], s[2:3]
	s_cbranch_execz .LBB30_227
; %bb.226:
	v_mov_b32_e32 v0, 0
	s_waitcnt lgkmcnt(0)
	global_store_dword v0, v5, s[18:19]
.LBB30_227:
	s_or_b64 exec, exec, s[2:3]
                                        ; implicit-def: $vgpr0_vgpr1
                                        ; implicit-def: $vgpr4_vgpr5
                                        ; implicit-def: $vgpr2_vgpr3
.LBB30_228:
	s_andn2_saveexec_b64 s[0:1], s[0:1]
	s_cbranch_execz .LBB30_154
; %bb.229:
	v_cmp_lt_i64_e32 vcc, 1, v[0:1]
	s_and_saveexec_b64 s[0:1], vcc
	s_xor_b64 s[0:1], exec, s[0:1]
	s_cbranch_execz .LBB30_231
; %bb.230:
	v_mov_b32_e32 v0, 0
	s_waitcnt lgkmcnt(0)
	global_store_dword v0, v4, s[18:19]
                                        ; implicit-def: $vgpr2_vgpr3
                                        ; implicit-def: $vgpr0_vgpr1
.LBB30_231:
	s_andn2_saveexec_b64 s[0:1], s[0:1]
	s_cbranch_execz .LBB30_154
; %bb.232:
	v_cmp_ne_u64_e32 vcc, 1, v[0:1]
	s_and_saveexec_b64 s[0:1], vcc
	s_xor_b64 s[0:1], exec, s[0:1]
	s_cbranch_execz .LBB30_234
; %bb.233:
	v_mov_b32_e32 v0, 0
	s_waitcnt lgkmcnt(0)
	global_store_dword v0, v2, s[18:19]
                                        ; implicit-def: $vgpr2_vgpr3
.LBB30_234:
	s_andn2_saveexec_b64 s[0:1], s[0:1]
	s_cbranch_execz .LBB30_154
; %bb.235:
	v_mov_b32_e32 v0, 0
	s_waitcnt lgkmcnt(0)
	global_store_dword v0, v3, s[18:19]
	s_endpgm
	.section	.rodata,"a",@progbits
	.p2align	6, 0x0
	.amdhsa_kernel _ZN7rocprim17ROCPRIM_400000_NS6detail17trampoline_kernelINS0_14default_configENS1_20scan_config_selectorIfEEZZNS1_9scan_implILNS1_25lookback_scan_determinismE0ELb1ELb1ES3_N6thrust23THRUST_200600_302600_NS6detail15normal_iteratorINS9_10device_ptrIKfEEEENSB_INSC_IfEEEEfNS9_4plusIvEEfEEDaPvRmT3_T4_T5_mT6_P12ihipStream_tbENKUlT_T0_E_clISt17integral_constantIbLb1EESX_EEDaSS_ST_EUlSS_E_NS1_11comp_targetILNS1_3genE5ELNS1_11target_archE942ELNS1_3gpuE9ELNS1_3repE0EEENS1_30default_config_static_selectorELNS0_4arch9wavefront6targetE1EEEvT1_
		.amdhsa_group_segment_fixed_size 24576
		.amdhsa_private_segment_fixed_size 0
		.amdhsa_kernarg_size 96
		.amdhsa_user_sgpr_count 2
		.amdhsa_user_sgpr_dispatch_ptr 0
		.amdhsa_user_sgpr_queue_ptr 0
		.amdhsa_user_sgpr_kernarg_segment_ptr 1
		.amdhsa_user_sgpr_dispatch_id 0
		.amdhsa_user_sgpr_kernarg_preload_length 0
		.amdhsa_user_sgpr_kernarg_preload_offset 0
		.amdhsa_user_sgpr_private_segment_size 0
		.amdhsa_uses_dynamic_stack 0
		.amdhsa_enable_private_segment 0
		.amdhsa_system_sgpr_workgroup_id_x 1
		.amdhsa_system_sgpr_workgroup_id_y 0
		.amdhsa_system_sgpr_workgroup_id_z 0
		.amdhsa_system_sgpr_workgroup_info 0
		.amdhsa_system_vgpr_workitem_id 0
		.amdhsa_next_free_vgpr 59
		.amdhsa_next_free_sgpr 41
		.amdhsa_accum_offset 60
		.amdhsa_reserve_vcc 1
		.amdhsa_float_round_mode_32 0
		.amdhsa_float_round_mode_16_64 0
		.amdhsa_float_denorm_mode_32 3
		.amdhsa_float_denorm_mode_16_64 3
		.amdhsa_dx10_clamp 1
		.amdhsa_ieee_mode 1
		.amdhsa_fp16_overflow 0
		.amdhsa_tg_split 0
		.amdhsa_exception_fp_ieee_invalid_op 0
		.amdhsa_exception_fp_denorm_src 0
		.amdhsa_exception_fp_ieee_div_zero 0
		.amdhsa_exception_fp_ieee_overflow 0
		.amdhsa_exception_fp_ieee_underflow 0
		.amdhsa_exception_fp_ieee_inexact 0
		.amdhsa_exception_int_div_zero 0
	.end_amdhsa_kernel
	.section	.text._ZN7rocprim17ROCPRIM_400000_NS6detail17trampoline_kernelINS0_14default_configENS1_20scan_config_selectorIfEEZZNS1_9scan_implILNS1_25lookback_scan_determinismE0ELb1ELb1ES3_N6thrust23THRUST_200600_302600_NS6detail15normal_iteratorINS9_10device_ptrIKfEEEENSB_INSC_IfEEEEfNS9_4plusIvEEfEEDaPvRmT3_T4_T5_mT6_P12ihipStream_tbENKUlT_T0_E_clISt17integral_constantIbLb1EESX_EEDaSS_ST_EUlSS_E_NS1_11comp_targetILNS1_3genE5ELNS1_11target_archE942ELNS1_3gpuE9ELNS1_3repE0EEENS1_30default_config_static_selectorELNS0_4arch9wavefront6targetE1EEEvT1_,"axG",@progbits,_ZN7rocprim17ROCPRIM_400000_NS6detail17trampoline_kernelINS0_14default_configENS1_20scan_config_selectorIfEEZZNS1_9scan_implILNS1_25lookback_scan_determinismE0ELb1ELb1ES3_N6thrust23THRUST_200600_302600_NS6detail15normal_iteratorINS9_10device_ptrIKfEEEENSB_INSC_IfEEEEfNS9_4plusIvEEfEEDaPvRmT3_T4_T5_mT6_P12ihipStream_tbENKUlT_T0_E_clISt17integral_constantIbLb1EESX_EEDaSS_ST_EUlSS_E_NS1_11comp_targetILNS1_3genE5ELNS1_11target_archE942ELNS1_3gpuE9ELNS1_3repE0EEENS1_30default_config_static_selectorELNS0_4arch9wavefront6targetE1EEEvT1_,comdat
.Lfunc_end30:
	.size	_ZN7rocprim17ROCPRIM_400000_NS6detail17trampoline_kernelINS0_14default_configENS1_20scan_config_selectorIfEEZZNS1_9scan_implILNS1_25lookback_scan_determinismE0ELb1ELb1ES3_N6thrust23THRUST_200600_302600_NS6detail15normal_iteratorINS9_10device_ptrIKfEEEENSB_INSC_IfEEEEfNS9_4plusIvEEfEEDaPvRmT3_T4_T5_mT6_P12ihipStream_tbENKUlT_T0_E_clISt17integral_constantIbLb1EESX_EEDaSS_ST_EUlSS_E_NS1_11comp_targetILNS1_3genE5ELNS1_11target_archE942ELNS1_3gpuE9ELNS1_3repE0EEENS1_30default_config_static_selectorELNS0_4arch9wavefront6targetE1EEEvT1_, .Lfunc_end30-_ZN7rocprim17ROCPRIM_400000_NS6detail17trampoline_kernelINS0_14default_configENS1_20scan_config_selectorIfEEZZNS1_9scan_implILNS1_25lookback_scan_determinismE0ELb1ELb1ES3_N6thrust23THRUST_200600_302600_NS6detail15normal_iteratorINS9_10device_ptrIKfEEEENSB_INSC_IfEEEEfNS9_4plusIvEEfEEDaPvRmT3_T4_T5_mT6_P12ihipStream_tbENKUlT_T0_E_clISt17integral_constantIbLb1EESX_EEDaSS_ST_EUlSS_E_NS1_11comp_targetILNS1_3genE5ELNS1_11target_archE942ELNS1_3gpuE9ELNS1_3repE0EEENS1_30default_config_static_selectorELNS0_4arch9wavefront6targetE1EEEvT1_
                                        ; -- End function
	.section	.AMDGPU.csdata,"",@progbits
; Kernel info:
; codeLenInByte = 8188
; NumSgprs: 47
; NumVgprs: 59
; NumAgprs: 0
; TotalNumVgprs: 59
; ScratchSize: 0
; MemoryBound: 0
; FloatMode: 240
; IeeeMode: 1
; LDSByteSize: 24576 bytes/workgroup (compile time only)
; SGPRBlocks: 5
; VGPRBlocks: 7
; NumSGPRsForWavesPerEU: 47
; NumVGPRsForWavesPerEU: 59
; AccumOffset: 60
; Occupancy: 2
; WaveLimiterHint : 1
; COMPUTE_PGM_RSRC2:SCRATCH_EN: 0
; COMPUTE_PGM_RSRC2:USER_SGPR: 2
; COMPUTE_PGM_RSRC2:TRAP_HANDLER: 0
; COMPUTE_PGM_RSRC2:TGID_X_EN: 1
; COMPUTE_PGM_RSRC2:TGID_Y_EN: 0
; COMPUTE_PGM_RSRC2:TGID_Z_EN: 0
; COMPUTE_PGM_RSRC2:TIDIG_COMP_CNT: 0
; COMPUTE_PGM_RSRC3_GFX90A:ACCUM_OFFSET: 14
; COMPUTE_PGM_RSRC3_GFX90A:TG_SPLIT: 0
	.section	.text._ZN7rocprim17ROCPRIM_400000_NS6detail17trampoline_kernelINS0_14default_configENS1_20scan_config_selectorIfEEZZNS1_9scan_implILNS1_25lookback_scan_determinismE0ELb1ELb1ES3_N6thrust23THRUST_200600_302600_NS6detail15normal_iteratorINS9_10device_ptrIKfEEEENSB_INSC_IfEEEEfNS9_4plusIvEEfEEDaPvRmT3_T4_T5_mT6_P12ihipStream_tbENKUlT_T0_E_clISt17integral_constantIbLb1EESX_EEDaSS_ST_EUlSS_E_NS1_11comp_targetILNS1_3genE4ELNS1_11target_archE910ELNS1_3gpuE8ELNS1_3repE0EEENS1_30default_config_static_selectorELNS0_4arch9wavefront6targetE1EEEvT1_,"axG",@progbits,_ZN7rocprim17ROCPRIM_400000_NS6detail17trampoline_kernelINS0_14default_configENS1_20scan_config_selectorIfEEZZNS1_9scan_implILNS1_25lookback_scan_determinismE0ELb1ELb1ES3_N6thrust23THRUST_200600_302600_NS6detail15normal_iteratorINS9_10device_ptrIKfEEEENSB_INSC_IfEEEEfNS9_4plusIvEEfEEDaPvRmT3_T4_T5_mT6_P12ihipStream_tbENKUlT_T0_E_clISt17integral_constantIbLb1EESX_EEDaSS_ST_EUlSS_E_NS1_11comp_targetILNS1_3genE4ELNS1_11target_archE910ELNS1_3gpuE8ELNS1_3repE0EEENS1_30default_config_static_selectorELNS0_4arch9wavefront6targetE1EEEvT1_,comdat
	.protected	_ZN7rocprim17ROCPRIM_400000_NS6detail17trampoline_kernelINS0_14default_configENS1_20scan_config_selectorIfEEZZNS1_9scan_implILNS1_25lookback_scan_determinismE0ELb1ELb1ES3_N6thrust23THRUST_200600_302600_NS6detail15normal_iteratorINS9_10device_ptrIKfEEEENSB_INSC_IfEEEEfNS9_4plusIvEEfEEDaPvRmT3_T4_T5_mT6_P12ihipStream_tbENKUlT_T0_E_clISt17integral_constantIbLb1EESX_EEDaSS_ST_EUlSS_E_NS1_11comp_targetILNS1_3genE4ELNS1_11target_archE910ELNS1_3gpuE8ELNS1_3repE0EEENS1_30default_config_static_selectorELNS0_4arch9wavefront6targetE1EEEvT1_ ; -- Begin function _ZN7rocprim17ROCPRIM_400000_NS6detail17trampoline_kernelINS0_14default_configENS1_20scan_config_selectorIfEEZZNS1_9scan_implILNS1_25lookback_scan_determinismE0ELb1ELb1ES3_N6thrust23THRUST_200600_302600_NS6detail15normal_iteratorINS9_10device_ptrIKfEEEENSB_INSC_IfEEEEfNS9_4plusIvEEfEEDaPvRmT3_T4_T5_mT6_P12ihipStream_tbENKUlT_T0_E_clISt17integral_constantIbLb1EESX_EEDaSS_ST_EUlSS_E_NS1_11comp_targetILNS1_3genE4ELNS1_11target_archE910ELNS1_3gpuE8ELNS1_3repE0EEENS1_30default_config_static_selectorELNS0_4arch9wavefront6targetE1EEEvT1_
	.globl	_ZN7rocprim17ROCPRIM_400000_NS6detail17trampoline_kernelINS0_14default_configENS1_20scan_config_selectorIfEEZZNS1_9scan_implILNS1_25lookback_scan_determinismE0ELb1ELb1ES3_N6thrust23THRUST_200600_302600_NS6detail15normal_iteratorINS9_10device_ptrIKfEEEENSB_INSC_IfEEEEfNS9_4plusIvEEfEEDaPvRmT3_T4_T5_mT6_P12ihipStream_tbENKUlT_T0_E_clISt17integral_constantIbLb1EESX_EEDaSS_ST_EUlSS_E_NS1_11comp_targetILNS1_3genE4ELNS1_11target_archE910ELNS1_3gpuE8ELNS1_3repE0EEENS1_30default_config_static_selectorELNS0_4arch9wavefront6targetE1EEEvT1_
	.p2align	8
	.type	_ZN7rocprim17ROCPRIM_400000_NS6detail17trampoline_kernelINS0_14default_configENS1_20scan_config_selectorIfEEZZNS1_9scan_implILNS1_25lookback_scan_determinismE0ELb1ELb1ES3_N6thrust23THRUST_200600_302600_NS6detail15normal_iteratorINS9_10device_ptrIKfEEEENSB_INSC_IfEEEEfNS9_4plusIvEEfEEDaPvRmT3_T4_T5_mT6_P12ihipStream_tbENKUlT_T0_E_clISt17integral_constantIbLb1EESX_EEDaSS_ST_EUlSS_E_NS1_11comp_targetILNS1_3genE4ELNS1_11target_archE910ELNS1_3gpuE8ELNS1_3repE0EEENS1_30default_config_static_selectorELNS0_4arch9wavefront6targetE1EEEvT1_,@function
_ZN7rocprim17ROCPRIM_400000_NS6detail17trampoline_kernelINS0_14default_configENS1_20scan_config_selectorIfEEZZNS1_9scan_implILNS1_25lookback_scan_determinismE0ELb1ELb1ES3_N6thrust23THRUST_200600_302600_NS6detail15normal_iteratorINS9_10device_ptrIKfEEEENSB_INSC_IfEEEEfNS9_4plusIvEEfEEDaPvRmT3_T4_T5_mT6_P12ihipStream_tbENKUlT_T0_E_clISt17integral_constantIbLb1EESX_EEDaSS_ST_EUlSS_E_NS1_11comp_targetILNS1_3genE4ELNS1_11target_archE910ELNS1_3gpuE8ELNS1_3repE0EEENS1_30default_config_static_selectorELNS0_4arch9wavefront6targetE1EEEvT1_: ; @_ZN7rocprim17ROCPRIM_400000_NS6detail17trampoline_kernelINS0_14default_configENS1_20scan_config_selectorIfEEZZNS1_9scan_implILNS1_25lookback_scan_determinismE0ELb1ELb1ES3_N6thrust23THRUST_200600_302600_NS6detail15normal_iteratorINS9_10device_ptrIKfEEEENSB_INSC_IfEEEEfNS9_4plusIvEEfEEDaPvRmT3_T4_T5_mT6_P12ihipStream_tbENKUlT_T0_E_clISt17integral_constantIbLb1EESX_EEDaSS_ST_EUlSS_E_NS1_11comp_targetILNS1_3genE4ELNS1_11target_archE910ELNS1_3gpuE8ELNS1_3repE0EEENS1_30default_config_static_selectorELNS0_4arch9wavefront6targetE1EEEvT1_
; %bb.0:
	.section	.rodata,"a",@progbits
	.p2align	6, 0x0
	.amdhsa_kernel _ZN7rocprim17ROCPRIM_400000_NS6detail17trampoline_kernelINS0_14default_configENS1_20scan_config_selectorIfEEZZNS1_9scan_implILNS1_25lookback_scan_determinismE0ELb1ELb1ES3_N6thrust23THRUST_200600_302600_NS6detail15normal_iteratorINS9_10device_ptrIKfEEEENSB_INSC_IfEEEEfNS9_4plusIvEEfEEDaPvRmT3_T4_T5_mT6_P12ihipStream_tbENKUlT_T0_E_clISt17integral_constantIbLb1EESX_EEDaSS_ST_EUlSS_E_NS1_11comp_targetILNS1_3genE4ELNS1_11target_archE910ELNS1_3gpuE8ELNS1_3repE0EEENS1_30default_config_static_selectorELNS0_4arch9wavefront6targetE1EEEvT1_
		.amdhsa_group_segment_fixed_size 0
		.amdhsa_private_segment_fixed_size 0
		.amdhsa_kernarg_size 96
		.amdhsa_user_sgpr_count 2
		.amdhsa_user_sgpr_dispatch_ptr 0
		.amdhsa_user_sgpr_queue_ptr 0
		.amdhsa_user_sgpr_kernarg_segment_ptr 1
		.amdhsa_user_sgpr_dispatch_id 0
		.amdhsa_user_sgpr_kernarg_preload_length 0
		.amdhsa_user_sgpr_kernarg_preload_offset 0
		.amdhsa_user_sgpr_private_segment_size 0
		.amdhsa_uses_dynamic_stack 0
		.amdhsa_enable_private_segment 0
		.amdhsa_system_sgpr_workgroup_id_x 1
		.amdhsa_system_sgpr_workgroup_id_y 0
		.amdhsa_system_sgpr_workgroup_id_z 0
		.amdhsa_system_sgpr_workgroup_info 0
		.amdhsa_system_vgpr_workitem_id 0
		.amdhsa_next_free_vgpr 1
		.amdhsa_next_free_sgpr 0
		.amdhsa_accum_offset 4
		.amdhsa_reserve_vcc 0
		.amdhsa_float_round_mode_32 0
		.amdhsa_float_round_mode_16_64 0
		.amdhsa_float_denorm_mode_32 3
		.amdhsa_float_denorm_mode_16_64 3
		.amdhsa_dx10_clamp 1
		.amdhsa_ieee_mode 1
		.amdhsa_fp16_overflow 0
		.amdhsa_tg_split 0
		.amdhsa_exception_fp_ieee_invalid_op 0
		.amdhsa_exception_fp_denorm_src 0
		.amdhsa_exception_fp_ieee_div_zero 0
		.amdhsa_exception_fp_ieee_overflow 0
		.amdhsa_exception_fp_ieee_underflow 0
		.amdhsa_exception_fp_ieee_inexact 0
		.amdhsa_exception_int_div_zero 0
	.end_amdhsa_kernel
	.section	.text._ZN7rocprim17ROCPRIM_400000_NS6detail17trampoline_kernelINS0_14default_configENS1_20scan_config_selectorIfEEZZNS1_9scan_implILNS1_25lookback_scan_determinismE0ELb1ELb1ES3_N6thrust23THRUST_200600_302600_NS6detail15normal_iteratorINS9_10device_ptrIKfEEEENSB_INSC_IfEEEEfNS9_4plusIvEEfEEDaPvRmT3_T4_T5_mT6_P12ihipStream_tbENKUlT_T0_E_clISt17integral_constantIbLb1EESX_EEDaSS_ST_EUlSS_E_NS1_11comp_targetILNS1_3genE4ELNS1_11target_archE910ELNS1_3gpuE8ELNS1_3repE0EEENS1_30default_config_static_selectorELNS0_4arch9wavefront6targetE1EEEvT1_,"axG",@progbits,_ZN7rocprim17ROCPRIM_400000_NS6detail17trampoline_kernelINS0_14default_configENS1_20scan_config_selectorIfEEZZNS1_9scan_implILNS1_25lookback_scan_determinismE0ELb1ELb1ES3_N6thrust23THRUST_200600_302600_NS6detail15normal_iteratorINS9_10device_ptrIKfEEEENSB_INSC_IfEEEEfNS9_4plusIvEEfEEDaPvRmT3_T4_T5_mT6_P12ihipStream_tbENKUlT_T0_E_clISt17integral_constantIbLb1EESX_EEDaSS_ST_EUlSS_E_NS1_11comp_targetILNS1_3genE4ELNS1_11target_archE910ELNS1_3gpuE8ELNS1_3repE0EEENS1_30default_config_static_selectorELNS0_4arch9wavefront6targetE1EEEvT1_,comdat
.Lfunc_end31:
	.size	_ZN7rocprim17ROCPRIM_400000_NS6detail17trampoline_kernelINS0_14default_configENS1_20scan_config_selectorIfEEZZNS1_9scan_implILNS1_25lookback_scan_determinismE0ELb1ELb1ES3_N6thrust23THRUST_200600_302600_NS6detail15normal_iteratorINS9_10device_ptrIKfEEEENSB_INSC_IfEEEEfNS9_4plusIvEEfEEDaPvRmT3_T4_T5_mT6_P12ihipStream_tbENKUlT_T0_E_clISt17integral_constantIbLb1EESX_EEDaSS_ST_EUlSS_E_NS1_11comp_targetILNS1_3genE4ELNS1_11target_archE910ELNS1_3gpuE8ELNS1_3repE0EEENS1_30default_config_static_selectorELNS0_4arch9wavefront6targetE1EEEvT1_, .Lfunc_end31-_ZN7rocprim17ROCPRIM_400000_NS6detail17trampoline_kernelINS0_14default_configENS1_20scan_config_selectorIfEEZZNS1_9scan_implILNS1_25lookback_scan_determinismE0ELb1ELb1ES3_N6thrust23THRUST_200600_302600_NS6detail15normal_iteratorINS9_10device_ptrIKfEEEENSB_INSC_IfEEEEfNS9_4plusIvEEfEEDaPvRmT3_T4_T5_mT6_P12ihipStream_tbENKUlT_T0_E_clISt17integral_constantIbLb1EESX_EEDaSS_ST_EUlSS_E_NS1_11comp_targetILNS1_3genE4ELNS1_11target_archE910ELNS1_3gpuE8ELNS1_3repE0EEENS1_30default_config_static_selectorELNS0_4arch9wavefront6targetE1EEEvT1_
                                        ; -- End function
	.section	.AMDGPU.csdata,"",@progbits
; Kernel info:
; codeLenInByte = 0
; NumSgprs: 6
; NumVgprs: 0
; NumAgprs: 0
; TotalNumVgprs: 0
; ScratchSize: 0
; MemoryBound: 0
; FloatMode: 240
; IeeeMode: 1
; LDSByteSize: 0 bytes/workgroup (compile time only)
; SGPRBlocks: 0
; VGPRBlocks: 0
; NumSGPRsForWavesPerEU: 6
; NumVGPRsForWavesPerEU: 1
; AccumOffset: 4
; Occupancy: 8
; WaveLimiterHint : 0
; COMPUTE_PGM_RSRC2:SCRATCH_EN: 0
; COMPUTE_PGM_RSRC2:USER_SGPR: 2
; COMPUTE_PGM_RSRC2:TRAP_HANDLER: 0
; COMPUTE_PGM_RSRC2:TGID_X_EN: 1
; COMPUTE_PGM_RSRC2:TGID_Y_EN: 0
; COMPUTE_PGM_RSRC2:TGID_Z_EN: 0
; COMPUTE_PGM_RSRC2:TIDIG_COMP_CNT: 0
; COMPUTE_PGM_RSRC3_GFX90A:ACCUM_OFFSET: 0
; COMPUTE_PGM_RSRC3_GFX90A:TG_SPLIT: 0
	.section	.text._ZN7rocprim17ROCPRIM_400000_NS6detail17trampoline_kernelINS0_14default_configENS1_20scan_config_selectorIfEEZZNS1_9scan_implILNS1_25lookback_scan_determinismE0ELb1ELb1ES3_N6thrust23THRUST_200600_302600_NS6detail15normal_iteratorINS9_10device_ptrIKfEEEENSB_INSC_IfEEEEfNS9_4plusIvEEfEEDaPvRmT3_T4_T5_mT6_P12ihipStream_tbENKUlT_T0_E_clISt17integral_constantIbLb1EESX_EEDaSS_ST_EUlSS_E_NS1_11comp_targetILNS1_3genE3ELNS1_11target_archE908ELNS1_3gpuE7ELNS1_3repE0EEENS1_30default_config_static_selectorELNS0_4arch9wavefront6targetE1EEEvT1_,"axG",@progbits,_ZN7rocprim17ROCPRIM_400000_NS6detail17trampoline_kernelINS0_14default_configENS1_20scan_config_selectorIfEEZZNS1_9scan_implILNS1_25lookback_scan_determinismE0ELb1ELb1ES3_N6thrust23THRUST_200600_302600_NS6detail15normal_iteratorINS9_10device_ptrIKfEEEENSB_INSC_IfEEEEfNS9_4plusIvEEfEEDaPvRmT3_T4_T5_mT6_P12ihipStream_tbENKUlT_T0_E_clISt17integral_constantIbLb1EESX_EEDaSS_ST_EUlSS_E_NS1_11comp_targetILNS1_3genE3ELNS1_11target_archE908ELNS1_3gpuE7ELNS1_3repE0EEENS1_30default_config_static_selectorELNS0_4arch9wavefront6targetE1EEEvT1_,comdat
	.protected	_ZN7rocprim17ROCPRIM_400000_NS6detail17trampoline_kernelINS0_14default_configENS1_20scan_config_selectorIfEEZZNS1_9scan_implILNS1_25lookback_scan_determinismE0ELb1ELb1ES3_N6thrust23THRUST_200600_302600_NS6detail15normal_iteratorINS9_10device_ptrIKfEEEENSB_INSC_IfEEEEfNS9_4plusIvEEfEEDaPvRmT3_T4_T5_mT6_P12ihipStream_tbENKUlT_T0_E_clISt17integral_constantIbLb1EESX_EEDaSS_ST_EUlSS_E_NS1_11comp_targetILNS1_3genE3ELNS1_11target_archE908ELNS1_3gpuE7ELNS1_3repE0EEENS1_30default_config_static_selectorELNS0_4arch9wavefront6targetE1EEEvT1_ ; -- Begin function _ZN7rocprim17ROCPRIM_400000_NS6detail17trampoline_kernelINS0_14default_configENS1_20scan_config_selectorIfEEZZNS1_9scan_implILNS1_25lookback_scan_determinismE0ELb1ELb1ES3_N6thrust23THRUST_200600_302600_NS6detail15normal_iteratorINS9_10device_ptrIKfEEEENSB_INSC_IfEEEEfNS9_4plusIvEEfEEDaPvRmT3_T4_T5_mT6_P12ihipStream_tbENKUlT_T0_E_clISt17integral_constantIbLb1EESX_EEDaSS_ST_EUlSS_E_NS1_11comp_targetILNS1_3genE3ELNS1_11target_archE908ELNS1_3gpuE7ELNS1_3repE0EEENS1_30default_config_static_selectorELNS0_4arch9wavefront6targetE1EEEvT1_
	.globl	_ZN7rocprim17ROCPRIM_400000_NS6detail17trampoline_kernelINS0_14default_configENS1_20scan_config_selectorIfEEZZNS1_9scan_implILNS1_25lookback_scan_determinismE0ELb1ELb1ES3_N6thrust23THRUST_200600_302600_NS6detail15normal_iteratorINS9_10device_ptrIKfEEEENSB_INSC_IfEEEEfNS9_4plusIvEEfEEDaPvRmT3_T4_T5_mT6_P12ihipStream_tbENKUlT_T0_E_clISt17integral_constantIbLb1EESX_EEDaSS_ST_EUlSS_E_NS1_11comp_targetILNS1_3genE3ELNS1_11target_archE908ELNS1_3gpuE7ELNS1_3repE0EEENS1_30default_config_static_selectorELNS0_4arch9wavefront6targetE1EEEvT1_
	.p2align	8
	.type	_ZN7rocprim17ROCPRIM_400000_NS6detail17trampoline_kernelINS0_14default_configENS1_20scan_config_selectorIfEEZZNS1_9scan_implILNS1_25lookback_scan_determinismE0ELb1ELb1ES3_N6thrust23THRUST_200600_302600_NS6detail15normal_iteratorINS9_10device_ptrIKfEEEENSB_INSC_IfEEEEfNS9_4plusIvEEfEEDaPvRmT3_T4_T5_mT6_P12ihipStream_tbENKUlT_T0_E_clISt17integral_constantIbLb1EESX_EEDaSS_ST_EUlSS_E_NS1_11comp_targetILNS1_3genE3ELNS1_11target_archE908ELNS1_3gpuE7ELNS1_3repE0EEENS1_30default_config_static_selectorELNS0_4arch9wavefront6targetE1EEEvT1_,@function
_ZN7rocprim17ROCPRIM_400000_NS6detail17trampoline_kernelINS0_14default_configENS1_20scan_config_selectorIfEEZZNS1_9scan_implILNS1_25lookback_scan_determinismE0ELb1ELb1ES3_N6thrust23THRUST_200600_302600_NS6detail15normal_iteratorINS9_10device_ptrIKfEEEENSB_INSC_IfEEEEfNS9_4plusIvEEfEEDaPvRmT3_T4_T5_mT6_P12ihipStream_tbENKUlT_T0_E_clISt17integral_constantIbLb1EESX_EEDaSS_ST_EUlSS_E_NS1_11comp_targetILNS1_3genE3ELNS1_11target_archE908ELNS1_3gpuE7ELNS1_3repE0EEENS1_30default_config_static_selectorELNS0_4arch9wavefront6targetE1EEEvT1_: ; @_ZN7rocprim17ROCPRIM_400000_NS6detail17trampoline_kernelINS0_14default_configENS1_20scan_config_selectorIfEEZZNS1_9scan_implILNS1_25lookback_scan_determinismE0ELb1ELb1ES3_N6thrust23THRUST_200600_302600_NS6detail15normal_iteratorINS9_10device_ptrIKfEEEENSB_INSC_IfEEEEfNS9_4plusIvEEfEEDaPvRmT3_T4_T5_mT6_P12ihipStream_tbENKUlT_T0_E_clISt17integral_constantIbLb1EESX_EEDaSS_ST_EUlSS_E_NS1_11comp_targetILNS1_3genE3ELNS1_11target_archE908ELNS1_3gpuE7ELNS1_3repE0EEENS1_30default_config_static_selectorELNS0_4arch9wavefront6targetE1EEEvT1_
; %bb.0:
	.section	.rodata,"a",@progbits
	.p2align	6, 0x0
	.amdhsa_kernel _ZN7rocprim17ROCPRIM_400000_NS6detail17trampoline_kernelINS0_14default_configENS1_20scan_config_selectorIfEEZZNS1_9scan_implILNS1_25lookback_scan_determinismE0ELb1ELb1ES3_N6thrust23THRUST_200600_302600_NS6detail15normal_iteratorINS9_10device_ptrIKfEEEENSB_INSC_IfEEEEfNS9_4plusIvEEfEEDaPvRmT3_T4_T5_mT6_P12ihipStream_tbENKUlT_T0_E_clISt17integral_constantIbLb1EESX_EEDaSS_ST_EUlSS_E_NS1_11comp_targetILNS1_3genE3ELNS1_11target_archE908ELNS1_3gpuE7ELNS1_3repE0EEENS1_30default_config_static_selectorELNS0_4arch9wavefront6targetE1EEEvT1_
		.amdhsa_group_segment_fixed_size 0
		.amdhsa_private_segment_fixed_size 0
		.amdhsa_kernarg_size 96
		.amdhsa_user_sgpr_count 2
		.amdhsa_user_sgpr_dispatch_ptr 0
		.amdhsa_user_sgpr_queue_ptr 0
		.amdhsa_user_sgpr_kernarg_segment_ptr 1
		.amdhsa_user_sgpr_dispatch_id 0
		.amdhsa_user_sgpr_kernarg_preload_length 0
		.amdhsa_user_sgpr_kernarg_preload_offset 0
		.amdhsa_user_sgpr_private_segment_size 0
		.amdhsa_uses_dynamic_stack 0
		.amdhsa_enable_private_segment 0
		.amdhsa_system_sgpr_workgroup_id_x 1
		.amdhsa_system_sgpr_workgroup_id_y 0
		.amdhsa_system_sgpr_workgroup_id_z 0
		.amdhsa_system_sgpr_workgroup_info 0
		.amdhsa_system_vgpr_workitem_id 0
		.amdhsa_next_free_vgpr 1
		.amdhsa_next_free_sgpr 0
		.amdhsa_accum_offset 4
		.amdhsa_reserve_vcc 0
		.amdhsa_float_round_mode_32 0
		.amdhsa_float_round_mode_16_64 0
		.amdhsa_float_denorm_mode_32 3
		.amdhsa_float_denorm_mode_16_64 3
		.amdhsa_dx10_clamp 1
		.amdhsa_ieee_mode 1
		.amdhsa_fp16_overflow 0
		.amdhsa_tg_split 0
		.amdhsa_exception_fp_ieee_invalid_op 0
		.amdhsa_exception_fp_denorm_src 0
		.amdhsa_exception_fp_ieee_div_zero 0
		.amdhsa_exception_fp_ieee_overflow 0
		.amdhsa_exception_fp_ieee_underflow 0
		.amdhsa_exception_fp_ieee_inexact 0
		.amdhsa_exception_int_div_zero 0
	.end_amdhsa_kernel
	.section	.text._ZN7rocprim17ROCPRIM_400000_NS6detail17trampoline_kernelINS0_14default_configENS1_20scan_config_selectorIfEEZZNS1_9scan_implILNS1_25lookback_scan_determinismE0ELb1ELb1ES3_N6thrust23THRUST_200600_302600_NS6detail15normal_iteratorINS9_10device_ptrIKfEEEENSB_INSC_IfEEEEfNS9_4plusIvEEfEEDaPvRmT3_T4_T5_mT6_P12ihipStream_tbENKUlT_T0_E_clISt17integral_constantIbLb1EESX_EEDaSS_ST_EUlSS_E_NS1_11comp_targetILNS1_3genE3ELNS1_11target_archE908ELNS1_3gpuE7ELNS1_3repE0EEENS1_30default_config_static_selectorELNS0_4arch9wavefront6targetE1EEEvT1_,"axG",@progbits,_ZN7rocprim17ROCPRIM_400000_NS6detail17trampoline_kernelINS0_14default_configENS1_20scan_config_selectorIfEEZZNS1_9scan_implILNS1_25lookback_scan_determinismE0ELb1ELb1ES3_N6thrust23THRUST_200600_302600_NS6detail15normal_iteratorINS9_10device_ptrIKfEEEENSB_INSC_IfEEEEfNS9_4plusIvEEfEEDaPvRmT3_T4_T5_mT6_P12ihipStream_tbENKUlT_T0_E_clISt17integral_constantIbLb1EESX_EEDaSS_ST_EUlSS_E_NS1_11comp_targetILNS1_3genE3ELNS1_11target_archE908ELNS1_3gpuE7ELNS1_3repE0EEENS1_30default_config_static_selectorELNS0_4arch9wavefront6targetE1EEEvT1_,comdat
.Lfunc_end32:
	.size	_ZN7rocprim17ROCPRIM_400000_NS6detail17trampoline_kernelINS0_14default_configENS1_20scan_config_selectorIfEEZZNS1_9scan_implILNS1_25lookback_scan_determinismE0ELb1ELb1ES3_N6thrust23THRUST_200600_302600_NS6detail15normal_iteratorINS9_10device_ptrIKfEEEENSB_INSC_IfEEEEfNS9_4plusIvEEfEEDaPvRmT3_T4_T5_mT6_P12ihipStream_tbENKUlT_T0_E_clISt17integral_constantIbLb1EESX_EEDaSS_ST_EUlSS_E_NS1_11comp_targetILNS1_3genE3ELNS1_11target_archE908ELNS1_3gpuE7ELNS1_3repE0EEENS1_30default_config_static_selectorELNS0_4arch9wavefront6targetE1EEEvT1_, .Lfunc_end32-_ZN7rocprim17ROCPRIM_400000_NS6detail17trampoline_kernelINS0_14default_configENS1_20scan_config_selectorIfEEZZNS1_9scan_implILNS1_25lookback_scan_determinismE0ELb1ELb1ES3_N6thrust23THRUST_200600_302600_NS6detail15normal_iteratorINS9_10device_ptrIKfEEEENSB_INSC_IfEEEEfNS9_4plusIvEEfEEDaPvRmT3_T4_T5_mT6_P12ihipStream_tbENKUlT_T0_E_clISt17integral_constantIbLb1EESX_EEDaSS_ST_EUlSS_E_NS1_11comp_targetILNS1_3genE3ELNS1_11target_archE908ELNS1_3gpuE7ELNS1_3repE0EEENS1_30default_config_static_selectorELNS0_4arch9wavefront6targetE1EEEvT1_
                                        ; -- End function
	.section	.AMDGPU.csdata,"",@progbits
; Kernel info:
; codeLenInByte = 0
; NumSgprs: 6
; NumVgprs: 0
; NumAgprs: 0
; TotalNumVgprs: 0
; ScratchSize: 0
; MemoryBound: 0
; FloatMode: 240
; IeeeMode: 1
; LDSByteSize: 0 bytes/workgroup (compile time only)
; SGPRBlocks: 0
; VGPRBlocks: 0
; NumSGPRsForWavesPerEU: 6
; NumVGPRsForWavesPerEU: 1
; AccumOffset: 4
; Occupancy: 8
; WaveLimiterHint : 0
; COMPUTE_PGM_RSRC2:SCRATCH_EN: 0
; COMPUTE_PGM_RSRC2:USER_SGPR: 2
; COMPUTE_PGM_RSRC2:TRAP_HANDLER: 0
; COMPUTE_PGM_RSRC2:TGID_X_EN: 1
; COMPUTE_PGM_RSRC2:TGID_Y_EN: 0
; COMPUTE_PGM_RSRC2:TGID_Z_EN: 0
; COMPUTE_PGM_RSRC2:TIDIG_COMP_CNT: 0
; COMPUTE_PGM_RSRC3_GFX90A:ACCUM_OFFSET: 0
; COMPUTE_PGM_RSRC3_GFX90A:TG_SPLIT: 0
	.section	.text._ZN7rocprim17ROCPRIM_400000_NS6detail17trampoline_kernelINS0_14default_configENS1_20scan_config_selectorIfEEZZNS1_9scan_implILNS1_25lookback_scan_determinismE0ELb1ELb1ES3_N6thrust23THRUST_200600_302600_NS6detail15normal_iteratorINS9_10device_ptrIKfEEEENSB_INSC_IfEEEEfNS9_4plusIvEEfEEDaPvRmT3_T4_T5_mT6_P12ihipStream_tbENKUlT_T0_E_clISt17integral_constantIbLb1EESX_EEDaSS_ST_EUlSS_E_NS1_11comp_targetILNS1_3genE2ELNS1_11target_archE906ELNS1_3gpuE6ELNS1_3repE0EEENS1_30default_config_static_selectorELNS0_4arch9wavefront6targetE1EEEvT1_,"axG",@progbits,_ZN7rocprim17ROCPRIM_400000_NS6detail17trampoline_kernelINS0_14default_configENS1_20scan_config_selectorIfEEZZNS1_9scan_implILNS1_25lookback_scan_determinismE0ELb1ELb1ES3_N6thrust23THRUST_200600_302600_NS6detail15normal_iteratorINS9_10device_ptrIKfEEEENSB_INSC_IfEEEEfNS9_4plusIvEEfEEDaPvRmT3_T4_T5_mT6_P12ihipStream_tbENKUlT_T0_E_clISt17integral_constantIbLb1EESX_EEDaSS_ST_EUlSS_E_NS1_11comp_targetILNS1_3genE2ELNS1_11target_archE906ELNS1_3gpuE6ELNS1_3repE0EEENS1_30default_config_static_selectorELNS0_4arch9wavefront6targetE1EEEvT1_,comdat
	.protected	_ZN7rocprim17ROCPRIM_400000_NS6detail17trampoline_kernelINS0_14default_configENS1_20scan_config_selectorIfEEZZNS1_9scan_implILNS1_25lookback_scan_determinismE0ELb1ELb1ES3_N6thrust23THRUST_200600_302600_NS6detail15normal_iteratorINS9_10device_ptrIKfEEEENSB_INSC_IfEEEEfNS9_4plusIvEEfEEDaPvRmT3_T4_T5_mT6_P12ihipStream_tbENKUlT_T0_E_clISt17integral_constantIbLb1EESX_EEDaSS_ST_EUlSS_E_NS1_11comp_targetILNS1_3genE2ELNS1_11target_archE906ELNS1_3gpuE6ELNS1_3repE0EEENS1_30default_config_static_selectorELNS0_4arch9wavefront6targetE1EEEvT1_ ; -- Begin function _ZN7rocprim17ROCPRIM_400000_NS6detail17trampoline_kernelINS0_14default_configENS1_20scan_config_selectorIfEEZZNS1_9scan_implILNS1_25lookback_scan_determinismE0ELb1ELb1ES3_N6thrust23THRUST_200600_302600_NS6detail15normal_iteratorINS9_10device_ptrIKfEEEENSB_INSC_IfEEEEfNS9_4plusIvEEfEEDaPvRmT3_T4_T5_mT6_P12ihipStream_tbENKUlT_T0_E_clISt17integral_constantIbLb1EESX_EEDaSS_ST_EUlSS_E_NS1_11comp_targetILNS1_3genE2ELNS1_11target_archE906ELNS1_3gpuE6ELNS1_3repE0EEENS1_30default_config_static_selectorELNS0_4arch9wavefront6targetE1EEEvT1_
	.globl	_ZN7rocprim17ROCPRIM_400000_NS6detail17trampoline_kernelINS0_14default_configENS1_20scan_config_selectorIfEEZZNS1_9scan_implILNS1_25lookback_scan_determinismE0ELb1ELb1ES3_N6thrust23THRUST_200600_302600_NS6detail15normal_iteratorINS9_10device_ptrIKfEEEENSB_INSC_IfEEEEfNS9_4plusIvEEfEEDaPvRmT3_T4_T5_mT6_P12ihipStream_tbENKUlT_T0_E_clISt17integral_constantIbLb1EESX_EEDaSS_ST_EUlSS_E_NS1_11comp_targetILNS1_3genE2ELNS1_11target_archE906ELNS1_3gpuE6ELNS1_3repE0EEENS1_30default_config_static_selectorELNS0_4arch9wavefront6targetE1EEEvT1_
	.p2align	8
	.type	_ZN7rocprim17ROCPRIM_400000_NS6detail17trampoline_kernelINS0_14default_configENS1_20scan_config_selectorIfEEZZNS1_9scan_implILNS1_25lookback_scan_determinismE0ELb1ELb1ES3_N6thrust23THRUST_200600_302600_NS6detail15normal_iteratorINS9_10device_ptrIKfEEEENSB_INSC_IfEEEEfNS9_4plusIvEEfEEDaPvRmT3_T4_T5_mT6_P12ihipStream_tbENKUlT_T0_E_clISt17integral_constantIbLb1EESX_EEDaSS_ST_EUlSS_E_NS1_11comp_targetILNS1_3genE2ELNS1_11target_archE906ELNS1_3gpuE6ELNS1_3repE0EEENS1_30default_config_static_selectorELNS0_4arch9wavefront6targetE1EEEvT1_,@function
_ZN7rocprim17ROCPRIM_400000_NS6detail17trampoline_kernelINS0_14default_configENS1_20scan_config_selectorIfEEZZNS1_9scan_implILNS1_25lookback_scan_determinismE0ELb1ELb1ES3_N6thrust23THRUST_200600_302600_NS6detail15normal_iteratorINS9_10device_ptrIKfEEEENSB_INSC_IfEEEEfNS9_4plusIvEEfEEDaPvRmT3_T4_T5_mT6_P12ihipStream_tbENKUlT_T0_E_clISt17integral_constantIbLb1EESX_EEDaSS_ST_EUlSS_E_NS1_11comp_targetILNS1_3genE2ELNS1_11target_archE906ELNS1_3gpuE6ELNS1_3repE0EEENS1_30default_config_static_selectorELNS0_4arch9wavefront6targetE1EEEvT1_: ; @_ZN7rocprim17ROCPRIM_400000_NS6detail17trampoline_kernelINS0_14default_configENS1_20scan_config_selectorIfEEZZNS1_9scan_implILNS1_25lookback_scan_determinismE0ELb1ELb1ES3_N6thrust23THRUST_200600_302600_NS6detail15normal_iteratorINS9_10device_ptrIKfEEEENSB_INSC_IfEEEEfNS9_4plusIvEEfEEDaPvRmT3_T4_T5_mT6_P12ihipStream_tbENKUlT_T0_E_clISt17integral_constantIbLb1EESX_EEDaSS_ST_EUlSS_E_NS1_11comp_targetILNS1_3genE2ELNS1_11target_archE906ELNS1_3gpuE6ELNS1_3repE0EEENS1_30default_config_static_selectorELNS0_4arch9wavefront6targetE1EEEvT1_
; %bb.0:
	.section	.rodata,"a",@progbits
	.p2align	6, 0x0
	.amdhsa_kernel _ZN7rocprim17ROCPRIM_400000_NS6detail17trampoline_kernelINS0_14default_configENS1_20scan_config_selectorIfEEZZNS1_9scan_implILNS1_25lookback_scan_determinismE0ELb1ELb1ES3_N6thrust23THRUST_200600_302600_NS6detail15normal_iteratorINS9_10device_ptrIKfEEEENSB_INSC_IfEEEEfNS9_4plusIvEEfEEDaPvRmT3_T4_T5_mT6_P12ihipStream_tbENKUlT_T0_E_clISt17integral_constantIbLb1EESX_EEDaSS_ST_EUlSS_E_NS1_11comp_targetILNS1_3genE2ELNS1_11target_archE906ELNS1_3gpuE6ELNS1_3repE0EEENS1_30default_config_static_selectorELNS0_4arch9wavefront6targetE1EEEvT1_
		.amdhsa_group_segment_fixed_size 0
		.amdhsa_private_segment_fixed_size 0
		.amdhsa_kernarg_size 96
		.amdhsa_user_sgpr_count 2
		.amdhsa_user_sgpr_dispatch_ptr 0
		.amdhsa_user_sgpr_queue_ptr 0
		.amdhsa_user_sgpr_kernarg_segment_ptr 1
		.amdhsa_user_sgpr_dispatch_id 0
		.amdhsa_user_sgpr_kernarg_preload_length 0
		.amdhsa_user_sgpr_kernarg_preload_offset 0
		.amdhsa_user_sgpr_private_segment_size 0
		.amdhsa_uses_dynamic_stack 0
		.amdhsa_enable_private_segment 0
		.amdhsa_system_sgpr_workgroup_id_x 1
		.amdhsa_system_sgpr_workgroup_id_y 0
		.amdhsa_system_sgpr_workgroup_id_z 0
		.amdhsa_system_sgpr_workgroup_info 0
		.amdhsa_system_vgpr_workitem_id 0
		.amdhsa_next_free_vgpr 1
		.amdhsa_next_free_sgpr 0
		.amdhsa_accum_offset 4
		.amdhsa_reserve_vcc 0
		.amdhsa_float_round_mode_32 0
		.amdhsa_float_round_mode_16_64 0
		.amdhsa_float_denorm_mode_32 3
		.amdhsa_float_denorm_mode_16_64 3
		.amdhsa_dx10_clamp 1
		.amdhsa_ieee_mode 1
		.amdhsa_fp16_overflow 0
		.amdhsa_tg_split 0
		.amdhsa_exception_fp_ieee_invalid_op 0
		.amdhsa_exception_fp_denorm_src 0
		.amdhsa_exception_fp_ieee_div_zero 0
		.amdhsa_exception_fp_ieee_overflow 0
		.amdhsa_exception_fp_ieee_underflow 0
		.amdhsa_exception_fp_ieee_inexact 0
		.amdhsa_exception_int_div_zero 0
	.end_amdhsa_kernel
	.section	.text._ZN7rocprim17ROCPRIM_400000_NS6detail17trampoline_kernelINS0_14default_configENS1_20scan_config_selectorIfEEZZNS1_9scan_implILNS1_25lookback_scan_determinismE0ELb1ELb1ES3_N6thrust23THRUST_200600_302600_NS6detail15normal_iteratorINS9_10device_ptrIKfEEEENSB_INSC_IfEEEEfNS9_4plusIvEEfEEDaPvRmT3_T4_T5_mT6_P12ihipStream_tbENKUlT_T0_E_clISt17integral_constantIbLb1EESX_EEDaSS_ST_EUlSS_E_NS1_11comp_targetILNS1_3genE2ELNS1_11target_archE906ELNS1_3gpuE6ELNS1_3repE0EEENS1_30default_config_static_selectorELNS0_4arch9wavefront6targetE1EEEvT1_,"axG",@progbits,_ZN7rocprim17ROCPRIM_400000_NS6detail17trampoline_kernelINS0_14default_configENS1_20scan_config_selectorIfEEZZNS1_9scan_implILNS1_25lookback_scan_determinismE0ELb1ELb1ES3_N6thrust23THRUST_200600_302600_NS6detail15normal_iteratorINS9_10device_ptrIKfEEEENSB_INSC_IfEEEEfNS9_4plusIvEEfEEDaPvRmT3_T4_T5_mT6_P12ihipStream_tbENKUlT_T0_E_clISt17integral_constantIbLb1EESX_EEDaSS_ST_EUlSS_E_NS1_11comp_targetILNS1_3genE2ELNS1_11target_archE906ELNS1_3gpuE6ELNS1_3repE0EEENS1_30default_config_static_selectorELNS0_4arch9wavefront6targetE1EEEvT1_,comdat
.Lfunc_end33:
	.size	_ZN7rocprim17ROCPRIM_400000_NS6detail17trampoline_kernelINS0_14default_configENS1_20scan_config_selectorIfEEZZNS1_9scan_implILNS1_25lookback_scan_determinismE0ELb1ELb1ES3_N6thrust23THRUST_200600_302600_NS6detail15normal_iteratorINS9_10device_ptrIKfEEEENSB_INSC_IfEEEEfNS9_4plusIvEEfEEDaPvRmT3_T4_T5_mT6_P12ihipStream_tbENKUlT_T0_E_clISt17integral_constantIbLb1EESX_EEDaSS_ST_EUlSS_E_NS1_11comp_targetILNS1_3genE2ELNS1_11target_archE906ELNS1_3gpuE6ELNS1_3repE0EEENS1_30default_config_static_selectorELNS0_4arch9wavefront6targetE1EEEvT1_, .Lfunc_end33-_ZN7rocprim17ROCPRIM_400000_NS6detail17trampoline_kernelINS0_14default_configENS1_20scan_config_selectorIfEEZZNS1_9scan_implILNS1_25lookback_scan_determinismE0ELb1ELb1ES3_N6thrust23THRUST_200600_302600_NS6detail15normal_iteratorINS9_10device_ptrIKfEEEENSB_INSC_IfEEEEfNS9_4plusIvEEfEEDaPvRmT3_T4_T5_mT6_P12ihipStream_tbENKUlT_T0_E_clISt17integral_constantIbLb1EESX_EEDaSS_ST_EUlSS_E_NS1_11comp_targetILNS1_3genE2ELNS1_11target_archE906ELNS1_3gpuE6ELNS1_3repE0EEENS1_30default_config_static_selectorELNS0_4arch9wavefront6targetE1EEEvT1_
                                        ; -- End function
	.section	.AMDGPU.csdata,"",@progbits
; Kernel info:
; codeLenInByte = 0
; NumSgprs: 6
; NumVgprs: 0
; NumAgprs: 0
; TotalNumVgprs: 0
; ScratchSize: 0
; MemoryBound: 0
; FloatMode: 240
; IeeeMode: 1
; LDSByteSize: 0 bytes/workgroup (compile time only)
; SGPRBlocks: 0
; VGPRBlocks: 0
; NumSGPRsForWavesPerEU: 6
; NumVGPRsForWavesPerEU: 1
; AccumOffset: 4
; Occupancy: 8
; WaveLimiterHint : 0
; COMPUTE_PGM_RSRC2:SCRATCH_EN: 0
; COMPUTE_PGM_RSRC2:USER_SGPR: 2
; COMPUTE_PGM_RSRC2:TRAP_HANDLER: 0
; COMPUTE_PGM_RSRC2:TGID_X_EN: 1
; COMPUTE_PGM_RSRC2:TGID_Y_EN: 0
; COMPUTE_PGM_RSRC2:TGID_Z_EN: 0
; COMPUTE_PGM_RSRC2:TIDIG_COMP_CNT: 0
; COMPUTE_PGM_RSRC3_GFX90A:ACCUM_OFFSET: 0
; COMPUTE_PGM_RSRC3_GFX90A:TG_SPLIT: 0
	.section	.text._ZN7rocprim17ROCPRIM_400000_NS6detail17trampoline_kernelINS0_14default_configENS1_20scan_config_selectorIfEEZZNS1_9scan_implILNS1_25lookback_scan_determinismE0ELb1ELb1ES3_N6thrust23THRUST_200600_302600_NS6detail15normal_iteratorINS9_10device_ptrIKfEEEENSB_INSC_IfEEEEfNS9_4plusIvEEfEEDaPvRmT3_T4_T5_mT6_P12ihipStream_tbENKUlT_T0_E_clISt17integral_constantIbLb1EESX_EEDaSS_ST_EUlSS_E_NS1_11comp_targetILNS1_3genE10ELNS1_11target_archE1201ELNS1_3gpuE5ELNS1_3repE0EEENS1_30default_config_static_selectorELNS0_4arch9wavefront6targetE1EEEvT1_,"axG",@progbits,_ZN7rocprim17ROCPRIM_400000_NS6detail17trampoline_kernelINS0_14default_configENS1_20scan_config_selectorIfEEZZNS1_9scan_implILNS1_25lookback_scan_determinismE0ELb1ELb1ES3_N6thrust23THRUST_200600_302600_NS6detail15normal_iteratorINS9_10device_ptrIKfEEEENSB_INSC_IfEEEEfNS9_4plusIvEEfEEDaPvRmT3_T4_T5_mT6_P12ihipStream_tbENKUlT_T0_E_clISt17integral_constantIbLb1EESX_EEDaSS_ST_EUlSS_E_NS1_11comp_targetILNS1_3genE10ELNS1_11target_archE1201ELNS1_3gpuE5ELNS1_3repE0EEENS1_30default_config_static_selectorELNS0_4arch9wavefront6targetE1EEEvT1_,comdat
	.protected	_ZN7rocprim17ROCPRIM_400000_NS6detail17trampoline_kernelINS0_14default_configENS1_20scan_config_selectorIfEEZZNS1_9scan_implILNS1_25lookback_scan_determinismE0ELb1ELb1ES3_N6thrust23THRUST_200600_302600_NS6detail15normal_iteratorINS9_10device_ptrIKfEEEENSB_INSC_IfEEEEfNS9_4plusIvEEfEEDaPvRmT3_T4_T5_mT6_P12ihipStream_tbENKUlT_T0_E_clISt17integral_constantIbLb1EESX_EEDaSS_ST_EUlSS_E_NS1_11comp_targetILNS1_3genE10ELNS1_11target_archE1201ELNS1_3gpuE5ELNS1_3repE0EEENS1_30default_config_static_selectorELNS0_4arch9wavefront6targetE1EEEvT1_ ; -- Begin function _ZN7rocprim17ROCPRIM_400000_NS6detail17trampoline_kernelINS0_14default_configENS1_20scan_config_selectorIfEEZZNS1_9scan_implILNS1_25lookback_scan_determinismE0ELb1ELb1ES3_N6thrust23THRUST_200600_302600_NS6detail15normal_iteratorINS9_10device_ptrIKfEEEENSB_INSC_IfEEEEfNS9_4plusIvEEfEEDaPvRmT3_T4_T5_mT6_P12ihipStream_tbENKUlT_T0_E_clISt17integral_constantIbLb1EESX_EEDaSS_ST_EUlSS_E_NS1_11comp_targetILNS1_3genE10ELNS1_11target_archE1201ELNS1_3gpuE5ELNS1_3repE0EEENS1_30default_config_static_selectorELNS0_4arch9wavefront6targetE1EEEvT1_
	.globl	_ZN7rocprim17ROCPRIM_400000_NS6detail17trampoline_kernelINS0_14default_configENS1_20scan_config_selectorIfEEZZNS1_9scan_implILNS1_25lookback_scan_determinismE0ELb1ELb1ES3_N6thrust23THRUST_200600_302600_NS6detail15normal_iteratorINS9_10device_ptrIKfEEEENSB_INSC_IfEEEEfNS9_4plusIvEEfEEDaPvRmT3_T4_T5_mT6_P12ihipStream_tbENKUlT_T0_E_clISt17integral_constantIbLb1EESX_EEDaSS_ST_EUlSS_E_NS1_11comp_targetILNS1_3genE10ELNS1_11target_archE1201ELNS1_3gpuE5ELNS1_3repE0EEENS1_30default_config_static_selectorELNS0_4arch9wavefront6targetE1EEEvT1_
	.p2align	8
	.type	_ZN7rocprim17ROCPRIM_400000_NS6detail17trampoline_kernelINS0_14default_configENS1_20scan_config_selectorIfEEZZNS1_9scan_implILNS1_25lookback_scan_determinismE0ELb1ELb1ES3_N6thrust23THRUST_200600_302600_NS6detail15normal_iteratorINS9_10device_ptrIKfEEEENSB_INSC_IfEEEEfNS9_4plusIvEEfEEDaPvRmT3_T4_T5_mT6_P12ihipStream_tbENKUlT_T0_E_clISt17integral_constantIbLb1EESX_EEDaSS_ST_EUlSS_E_NS1_11comp_targetILNS1_3genE10ELNS1_11target_archE1201ELNS1_3gpuE5ELNS1_3repE0EEENS1_30default_config_static_selectorELNS0_4arch9wavefront6targetE1EEEvT1_,@function
_ZN7rocprim17ROCPRIM_400000_NS6detail17trampoline_kernelINS0_14default_configENS1_20scan_config_selectorIfEEZZNS1_9scan_implILNS1_25lookback_scan_determinismE0ELb1ELb1ES3_N6thrust23THRUST_200600_302600_NS6detail15normal_iteratorINS9_10device_ptrIKfEEEENSB_INSC_IfEEEEfNS9_4plusIvEEfEEDaPvRmT3_T4_T5_mT6_P12ihipStream_tbENKUlT_T0_E_clISt17integral_constantIbLb1EESX_EEDaSS_ST_EUlSS_E_NS1_11comp_targetILNS1_3genE10ELNS1_11target_archE1201ELNS1_3gpuE5ELNS1_3repE0EEENS1_30default_config_static_selectorELNS0_4arch9wavefront6targetE1EEEvT1_: ; @_ZN7rocprim17ROCPRIM_400000_NS6detail17trampoline_kernelINS0_14default_configENS1_20scan_config_selectorIfEEZZNS1_9scan_implILNS1_25lookback_scan_determinismE0ELb1ELb1ES3_N6thrust23THRUST_200600_302600_NS6detail15normal_iteratorINS9_10device_ptrIKfEEEENSB_INSC_IfEEEEfNS9_4plusIvEEfEEDaPvRmT3_T4_T5_mT6_P12ihipStream_tbENKUlT_T0_E_clISt17integral_constantIbLb1EESX_EEDaSS_ST_EUlSS_E_NS1_11comp_targetILNS1_3genE10ELNS1_11target_archE1201ELNS1_3gpuE5ELNS1_3repE0EEENS1_30default_config_static_selectorELNS0_4arch9wavefront6targetE1EEEvT1_
; %bb.0:
	.section	.rodata,"a",@progbits
	.p2align	6, 0x0
	.amdhsa_kernel _ZN7rocprim17ROCPRIM_400000_NS6detail17trampoline_kernelINS0_14default_configENS1_20scan_config_selectorIfEEZZNS1_9scan_implILNS1_25lookback_scan_determinismE0ELb1ELb1ES3_N6thrust23THRUST_200600_302600_NS6detail15normal_iteratorINS9_10device_ptrIKfEEEENSB_INSC_IfEEEEfNS9_4plusIvEEfEEDaPvRmT3_T4_T5_mT6_P12ihipStream_tbENKUlT_T0_E_clISt17integral_constantIbLb1EESX_EEDaSS_ST_EUlSS_E_NS1_11comp_targetILNS1_3genE10ELNS1_11target_archE1201ELNS1_3gpuE5ELNS1_3repE0EEENS1_30default_config_static_selectorELNS0_4arch9wavefront6targetE1EEEvT1_
		.amdhsa_group_segment_fixed_size 0
		.amdhsa_private_segment_fixed_size 0
		.amdhsa_kernarg_size 96
		.amdhsa_user_sgpr_count 2
		.amdhsa_user_sgpr_dispatch_ptr 0
		.amdhsa_user_sgpr_queue_ptr 0
		.amdhsa_user_sgpr_kernarg_segment_ptr 1
		.amdhsa_user_sgpr_dispatch_id 0
		.amdhsa_user_sgpr_kernarg_preload_length 0
		.amdhsa_user_sgpr_kernarg_preload_offset 0
		.amdhsa_user_sgpr_private_segment_size 0
		.amdhsa_uses_dynamic_stack 0
		.amdhsa_enable_private_segment 0
		.amdhsa_system_sgpr_workgroup_id_x 1
		.amdhsa_system_sgpr_workgroup_id_y 0
		.amdhsa_system_sgpr_workgroup_id_z 0
		.amdhsa_system_sgpr_workgroup_info 0
		.amdhsa_system_vgpr_workitem_id 0
		.amdhsa_next_free_vgpr 1
		.amdhsa_next_free_sgpr 0
		.amdhsa_accum_offset 4
		.amdhsa_reserve_vcc 0
		.amdhsa_float_round_mode_32 0
		.amdhsa_float_round_mode_16_64 0
		.amdhsa_float_denorm_mode_32 3
		.amdhsa_float_denorm_mode_16_64 3
		.amdhsa_dx10_clamp 1
		.amdhsa_ieee_mode 1
		.amdhsa_fp16_overflow 0
		.amdhsa_tg_split 0
		.amdhsa_exception_fp_ieee_invalid_op 0
		.amdhsa_exception_fp_denorm_src 0
		.amdhsa_exception_fp_ieee_div_zero 0
		.amdhsa_exception_fp_ieee_overflow 0
		.amdhsa_exception_fp_ieee_underflow 0
		.amdhsa_exception_fp_ieee_inexact 0
		.amdhsa_exception_int_div_zero 0
	.end_amdhsa_kernel
	.section	.text._ZN7rocprim17ROCPRIM_400000_NS6detail17trampoline_kernelINS0_14default_configENS1_20scan_config_selectorIfEEZZNS1_9scan_implILNS1_25lookback_scan_determinismE0ELb1ELb1ES3_N6thrust23THRUST_200600_302600_NS6detail15normal_iteratorINS9_10device_ptrIKfEEEENSB_INSC_IfEEEEfNS9_4plusIvEEfEEDaPvRmT3_T4_T5_mT6_P12ihipStream_tbENKUlT_T0_E_clISt17integral_constantIbLb1EESX_EEDaSS_ST_EUlSS_E_NS1_11comp_targetILNS1_3genE10ELNS1_11target_archE1201ELNS1_3gpuE5ELNS1_3repE0EEENS1_30default_config_static_selectorELNS0_4arch9wavefront6targetE1EEEvT1_,"axG",@progbits,_ZN7rocprim17ROCPRIM_400000_NS6detail17trampoline_kernelINS0_14default_configENS1_20scan_config_selectorIfEEZZNS1_9scan_implILNS1_25lookback_scan_determinismE0ELb1ELb1ES3_N6thrust23THRUST_200600_302600_NS6detail15normal_iteratorINS9_10device_ptrIKfEEEENSB_INSC_IfEEEEfNS9_4plusIvEEfEEDaPvRmT3_T4_T5_mT6_P12ihipStream_tbENKUlT_T0_E_clISt17integral_constantIbLb1EESX_EEDaSS_ST_EUlSS_E_NS1_11comp_targetILNS1_3genE10ELNS1_11target_archE1201ELNS1_3gpuE5ELNS1_3repE0EEENS1_30default_config_static_selectorELNS0_4arch9wavefront6targetE1EEEvT1_,comdat
.Lfunc_end34:
	.size	_ZN7rocprim17ROCPRIM_400000_NS6detail17trampoline_kernelINS0_14default_configENS1_20scan_config_selectorIfEEZZNS1_9scan_implILNS1_25lookback_scan_determinismE0ELb1ELb1ES3_N6thrust23THRUST_200600_302600_NS6detail15normal_iteratorINS9_10device_ptrIKfEEEENSB_INSC_IfEEEEfNS9_4plusIvEEfEEDaPvRmT3_T4_T5_mT6_P12ihipStream_tbENKUlT_T0_E_clISt17integral_constantIbLb1EESX_EEDaSS_ST_EUlSS_E_NS1_11comp_targetILNS1_3genE10ELNS1_11target_archE1201ELNS1_3gpuE5ELNS1_3repE0EEENS1_30default_config_static_selectorELNS0_4arch9wavefront6targetE1EEEvT1_, .Lfunc_end34-_ZN7rocprim17ROCPRIM_400000_NS6detail17trampoline_kernelINS0_14default_configENS1_20scan_config_selectorIfEEZZNS1_9scan_implILNS1_25lookback_scan_determinismE0ELb1ELb1ES3_N6thrust23THRUST_200600_302600_NS6detail15normal_iteratorINS9_10device_ptrIKfEEEENSB_INSC_IfEEEEfNS9_4plusIvEEfEEDaPvRmT3_T4_T5_mT6_P12ihipStream_tbENKUlT_T0_E_clISt17integral_constantIbLb1EESX_EEDaSS_ST_EUlSS_E_NS1_11comp_targetILNS1_3genE10ELNS1_11target_archE1201ELNS1_3gpuE5ELNS1_3repE0EEENS1_30default_config_static_selectorELNS0_4arch9wavefront6targetE1EEEvT1_
                                        ; -- End function
	.section	.AMDGPU.csdata,"",@progbits
; Kernel info:
; codeLenInByte = 0
; NumSgprs: 6
; NumVgprs: 0
; NumAgprs: 0
; TotalNumVgprs: 0
; ScratchSize: 0
; MemoryBound: 0
; FloatMode: 240
; IeeeMode: 1
; LDSByteSize: 0 bytes/workgroup (compile time only)
; SGPRBlocks: 0
; VGPRBlocks: 0
; NumSGPRsForWavesPerEU: 6
; NumVGPRsForWavesPerEU: 1
; AccumOffset: 4
; Occupancy: 8
; WaveLimiterHint : 0
; COMPUTE_PGM_RSRC2:SCRATCH_EN: 0
; COMPUTE_PGM_RSRC2:USER_SGPR: 2
; COMPUTE_PGM_RSRC2:TRAP_HANDLER: 0
; COMPUTE_PGM_RSRC2:TGID_X_EN: 1
; COMPUTE_PGM_RSRC2:TGID_Y_EN: 0
; COMPUTE_PGM_RSRC2:TGID_Z_EN: 0
; COMPUTE_PGM_RSRC2:TIDIG_COMP_CNT: 0
; COMPUTE_PGM_RSRC3_GFX90A:ACCUM_OFFSET: 0
; COMPUTE_PGM_RSRC3_GFX90A:TG_SPLIT: 0
	.section	.text._ZN7rocprim17ROCPRIM_400000_NS6detail17trampoline_kernelINS0_14default_configENS1_20scan_config_selectorIfEEZZNS1_9scan_implILNS1_25lookback_scan_determinismE0ELb1ELb1ES3_N6thrust23THRUST_200600_302600_NS6detail15normal_iteratorINS9_10device_ptrIKfEEEENSB_INSC_IfEEEEfNS9_4plusIvEEfEEDaPvRmT3_T4_T5_mT6_P12ihipStream_tbENKUlT_T0_E_clISt17integral_constantIbLb1EESX_EEDaSS_ST_EUlSS_E_NS1_11comp_targetILNS1_3genE10ELNS1_11target_archE1200ELNS1_3gpuE4ELNS1_3repE0EEENS1_30default_config_static_selectorELNS0_4arch9wavefront6targetE1EEEvT1_,"axG",@progbits,_ZN7rocprim17ROCPRIM_400000_NS6detail17trampoline_kernelINS0_14default_configENS1_20scan_config_selectorIfEEZZNS1_9scan_implILNS1_25lookback_scan_determinismE0ELb1ELb1ES3_N6thrust23THRUST_200600_302600_NS6detail15normal_iteratorINS9_10device_ptrIKfEEEENSB_INSC_IfEEEEfNS9_4plusIvEEfEEDaPvRmT3_T4_T5_mT6_P12ihipStream_tbENKUlT_T0_E_clISt17integral_constantIbLb1EESX_EEDaSS_ST_EUlSS_E_NS1_11comp_targetILNS1_3genE10ELNS1_11target_archE1200ELNS1_3gpuE4ELNS1_3repE0EEENS1_30default_config_static_selectorELNS0_4arch9wavefront6targetE1EEEvT1_,comdat
	.protected	_ZN7rocprim17ROCPRIM_400000_NS6detail17trampoline_kernelINS0_14default_configENS1_20scan_config_selectorIfEEZZNS1_9scan_implILNS1_25lookback_scan_determinismE0ELb1ELb1ES3_N6thrust23THRUST_200600_302600_NS6detail15normal_iteratorINS9_10device_ptrIKfEEEENSB_INSC_IfEEEEfNS9_4plusIvEEfEEDaPvRmT3_T4_T5_mT6_P12ihipStream_tbENKUlT_T0_E_clISt17integral_constantIbLb1EESX_EEDaSS_ST_EUlSS_E_NS1_11comp_targetILNS1_3genE10ELNS1_11target_archE1200ELNS1_3gpuE4ELNS1_3repE0EEENS1_30default_config_static_selectorELNS0_4arch9wavefront6targetE1EEEvT1_ ; -- Begin function _ZN7rocprim17ROCPRIM_400000_NS6detail17trampoline_kernelINS0_14default_configENS1_20scan_config_selectorIfEEZZNS1_9scan_implILNS1_25lookback_scan_determinismE0ELb1ELb1ES3_N6thrust23THRUST_200600_302600_NS6detail15normal_iteratorINS9_10device_ptrIKfEEEENSB_INSC_IfEEEEfNS9_4plusIvEEfEEDaPvRmT3_T4_T5_mT6_P12ihipStream_tbENKUlT_T0_E_clISt17integral_constantIbLb1EESX_EEDaSS_ST_EUlSS_E_NS1_11comp_targetILNS1_3genE10ELNS1_11target_archE1200ELNS1_3gpuE4ELNS1_3repE0EEENS1_30default_config_static_selectorELNS0_4arch9wavefront6targetE1EEEvT1_
	.globl	_ZN7rocprim17ROCPRIM_400000_NS6detail17trampoline_kernelINS0_14default_configENS1_20scan_config_selectorIfEEZZNS1_9scan_implILNS1_25lookback_scan_determinismE0ELb1ELb1ES3_N6thrust23THRUST_200600_302600_NS6detail15normal_iteratorINS9_10device_ptrIKfEEEENSB_INSC_IfEEEEfNS9_4plusIvEEfEEDaPvRmT3_T4_T5_mT6_P12ihipStream_tbENKUlT_T0_E_clISt17integral_constantIbLb1EESX_EEDaSS_ST_EUlSS_E_NS1_11comp_targetILNS1_3genE10ELNS1_11target_archE1200ELNS1_3gpuE4ELNS1_3repE0EEENS1_30default_config_static_selectorELNS0_4arch9wavefront6targetE1EEEvT1_
	.p2align	8
	.type	_ZN7rocprim17ROCPRIM_400000_NS6detail17trampoline_kernelINS0_14default_configENS1_20scan_config_selectorIfEEZZNS1_9scan_implILNS1_25lookback_scan_determinismE0ELb1ELb1ES3_N6thrust23THRUST_200600_302600_NS6detail15normal_iteratorINS9_10device_ptrIKfEEEENSB_INSC_IfEEEEfNS9_4plusIvEEfEEDaPvRmT3_T4_T5_mT6_P12ihipStream_tbENKUlT_T0_E_clISt17integral_constantIbLb1EESX_EEDaSS_ST_EUlSS_E_NS1_11comp_targetILNS1_3genE10ELNS1_11target_archE1200ELNS1_3gpuE4ELNS1_3repE0EEENS1_30default_config_static_selectorELNS0_4arch9wavefront6targetE1EEEvT1_,@function
_ZN7rocprim17ROCPRIM_400000_NS6detail17trampoline_kernelINS0_14default_configENS1_20scan_config_selectorIfEEZZNS1_9scan_implILNS1_25lookback_scan_determinismE0ELb1ELb1ES3_N6thrust23THRUST_200600_302600_NS6detail15normal_iteratorINS9_10device_ptrIKfEEEENSB_INSC_IfEEEEfNS9_4plusIvEEfEEDaPvRmT3_T4_T5_mT6_P12ihipStream_tbENKUlT_T0_E_clISt17integral_constantIbLb1EESX_EEDaSS_ST_EUlSS_E_NS1_11comp_targetILNS1_3genE10ELNS1_11target_archE1200ELNS1_3gpuE4ELNS1_3repE0EEENS1_30default_config_static_selectorELNS0_4arch9wavefront6targetE1EEEvT1_: ; @_ZN7rocprim17ROCPRIM_400000_NS6detail17trampoline_kernelINS0_14default_configENS1_20scan_config_selectorIfEEZZNS1_9scan_implILNS1_25lookback_scan_determinismE0ELb1ELb1ES3_N6thrust23THRUST_200600_302600_NS6detail15normal_iteratorINS9_10device_ptrIKfEEEENSB_INSC_IfEEEEfNS9_4plusIvEEfEEDaPvRmT3_T4_T5_mT6_P12ihipStream_tbENKUlT_T0_E_clISt17integral_constantIbLb1EESX_EEDaSS_ST_EUlSS_E_NS1_11comp_targetILNS1_3genE10ELNS1_11target_archE1200ELNS1_3gpuE4ELNS1_3repE0EEENS1_30default_config_static_selectorELNS0_4arch9wavefront6targetE1EEEvT1_
; %bb.0:
	.section	.rodata,"a",@progbits
	.p2align	6, 0x0
	.amdhsa_kernel _ZN7rocprim17ROCPRIM_400000_NS6detail17trampoline_kernelINS0_14default_configENS1_20scan_config_selectorIfEEZZNS1_9scan_implILNS1_25lookback_scan_determinismE0ELb1ELb1ES3_N6thrust23THRUST_200600_302600_NS6detail15normal_iteratorINS9_10device_ptrIKfEEEENSB_INSC_IfEEEEfNS9_4plusIvEEfEEDaPvRmT3_T4_T5_mT6_P12ihipStream_tbENKUlT_T0_E_clISt17integral_constantIbLb1EESX_EEDaSS_ST_EUlSS_E_NS1_11comp_targetILNS1_3genE10ELNS1_11target_archE1200ELNS1_3gpuE4ELNS1_3repE0EEENS1_30default_config_static_selectorELNS0_4arch9wavefront6targetE1EEEvT1_
		.amdhsa_group_segment_fixed_size 0
		.amdhsa_private_segment_fixed_size 0
		.amdhsa_kernarg_size 96
		.amdhsa_user_sgpr_count 2
		.amdhsa_user_sgpr_dispatch_ptr 0
		.amdhsa_user_sgpr_queue_ptr 0
		.amdhsa_user_sgpr_kernarg_segment_ptr 1
		.amdhsa_user_sgpr_dispatch_id 0
		.amdhsa_user_sgpr_kernarg_preload_length 0
		.amdhsa_user_sgpr_kernarg_preload_offset 0
		.amdhsa_user_sgpr_private_segment_size 0
		.amdhsa_uses_dynamic_stack 0
		.amdhsa_enable_private_segment 0
		.amdhsa_system_sgpr_workgroup_id_x 1
		.amdhsa_system_sgpr_workgroup_id_y 0
		.amdhsa_system_sgpr_workgroup_id_z 0
		.amdhsa_system_sgpr_workgroup_info 0
		.amdhsa_system_vgpr_workitem_id 0
		.amdhsa_next_free_vgpr 1
		.amdhsa_next_free_sgpr 0
		.amdhsa_accum_offset 4
		.amdhsa_reserve_vcc 0
		.amdhsa_float_round_mode_32 0
		.amdhsa_float_round_mode_16_64 0
		.amdhsa_float_denorm_mode_32 3
		.amdhsa_float_denorm_mode_16_64 3
		.amdhsa_dx10_clamp 1
		.amdhsa_ieee_mode 1
		.amdhsa_fp16_overflow 0
		.amdhsa_tg_split 0
		.amdhsa_exception_fp_ieee_invalid_op 0
		.amdhsa_exception_fp_denorm_src 0
		.amdhsa_exception_fp_ieee_div_zero 0
		.amdhsa_exception_fp_ieee_overflow 0
		.amdhsa_exception_fp_ieee_underflow 0
		.amdhsa_exception_fp_ieee_inexact 0
		.amdhsa_exception_int_div_zero 0
	.end_amdhsa_kernel
	.section	.text._ZN7rocprim17ROCPRIM_400000_NS6detail17trampoline_kernelINS0_14default_configENS1_20scan_config_selectorIfEEZZNS1_9scan_implILNS1_25lookback_scan_determinismE0ELb1ELb1ES3_N6thrust23THRUST_200600_302600_NS6detail15normal_iteratorINS9_10device_ptrIKfEEEENSB_INSC_IfEEEEfNS9_4plusIvEEfEEDaPvRmT3_T4_T5_mT6_P12ihipStream_tbENKUlT_T0_E_clISt17integral_constantIbLb1EESX_EEDaSS_ST_EUlSS_E_NS1_11comp_targetILNS1_3genE10ELNS1_11target_archE1200ELNS1_3gpuE4ELNS1_3repE0EEENS1_30default_config_static_selectorELNS0_4arch9wavefront6targetE1EEEvT1_,"axG",@progbits,_ZN7rocprim17ROCPRIM_400000_NS6detail17trampoline_kernelINS0_14default_configENS1_20scan_config_selectorIfEEZZNS1_9scan_implILNS1_25lookback_scan_determinismE0ELb1ELb1ES3_N6thrust23THRUST_200600_302600_NS6detail15normal_iteratorINS9_10device_ptrIKfEEEENSB_INSC_IfEEEEfNS9_4plusIvEEfEEDaPvRmT3_T4_T5_mT6_P12ihipStream_tbENKUlT_T0_E_clISt17integral_constantIbLb1EESX_EEDaSS_ST_EUlSS_E_NS1_11comp_targetILNS1_3genE10ELNS1_11target_archE1200ELNS1_3gpuE4ELNS1_3repE0EEENS1_30default_config_static_selectorELNS0_4arch9wavefront6targetE1EEEvT1_,comdat
.Lfunc_end35:
	.size	_ZN7rocprim17ROCPRIM_400000_NS6detail17trampoline_kernelINS0_14default_configENS1_20scan_config_selectorIfEEZZNS1_9scan_implILNS1_25lookback_scan_determinismE0ELb1ELb1ES3_N6thrust23THRUST_200600_302600_NS6detail15normal_iteratorINS9_10device_ptrIKfEEEENSB_INSC_IfEEEEfNS9_4plusIvEEfEEDaPvRmT3_T4_T5_mT6_P12ihipStream_tbENKUlT_T0_E_clISt17integral_constantIbLb1EESX_EEDaSS_ST_EUlSS_E_NS1_11comp_targetILNS1_3genE10ELNS1_11target_archE1200ELNS1_3gpuE4ELNS1_3repE0EEENS1_30default_config_static_selectorELNS0_4arch9wavefront6targetE1EEEvT1_, .Lfunc_end35-_ZN7rocprim17ROCPRIM_400000_NS6detail17trampoline_kernelINS0_14default_configENS1_20scan_config_selectorIfEEZZNS1_9scan_implILNS1_25lookback_scan_determinismE0ELb1ELb1ES3_N6thrust23THRUST_200600_302600_NS6detail15normal_iteratorINS9_10device_ptrIKfEEEENSB_INSC_IfEEEEfNS9_4plusIvEEfEEDaPvRmT3_T4_T5_mT6_P12ihipStream_tbENKUlT_T0_E_clISt17integral_constantIbLb1EESX_EEDaSS_ST_EUlSS_E_NS1_11comp_targetILNS1_3genE10ELNS1_11target_archE1200ELNS1_3gpuE4ELNS1_3repE0EEENS1_30default_config_static_selectorELNS0_4arch9wavefront6targetE1EEEvT1_
                                        ; -- End function
	.section	.AMDGPU.csdata,"",@progbits
; Kernel info:
; codeLenInByte = 0
; NumSgprs: 6
; NumVgprs: 0
; NumAgprs: 0
; TotalNumVgprs: 0
; ScratchSize: 0
; MemoryBound: 0
; FloatMode: 240
; IeeeMode: 1
; LDSByteSize: 0 bytes/workgroup (compile time only)
; SGPRBlocks: 0
; VGPRBlocks: 0
; NumSGPRsForWavesPerEU: 6
; NumVGPRsForWavesPerEU: 1
; AccumOffset: 4
; Occupancy: 8
; WaveLimiterHint : 0
; COMPUTE_PGM_RSRC2:SCRATCH_EN: 0
; COMPUTE_PGM_RSRC2:USER_SGPR: 2
; COMPUTE_PGM_RSRC2:TRAP_HANDLER: 0
; COMPUTE_PGM_RSRC2:TGID_X_EN: 1
; COMPUTE_PGM_RSRC2:TGID_Y_EN: 0
; COMPUTE_PGM_RSRC2:TGID_Z_EN: 0
; COMPUTE_PGM_RSRC2:TIDIG_COMP_CNT: 0
; COMPUTE_PGM_RSRC3_GFX90A:ACCUM_OFFSET: 0
; COMPUTE_PGM_RSRC3_GFX90A:TG_SPLIT: 0
	.section	.text._ZN7rocprim17ROCPRIM_400000_NS6detail17trampoline_kernelINS0_14default_configENS1_20scan_config_selectorIfEEZZNS1_9scan_implILNS1_25lookback_scan_determinismE0ELb1ELb1ES3_N6thrust23THRUST_200600_302600_NS6detail15normal_iteratorINS9_10device_ptrIKfEEEENSB_INSC_IfEEEEfNS9_4plusIvEEfEEDaPvRmT3_T4_T5_mT6_P12ihipStream_tbENKUlT_T0_E_clISt17integral_constantIbLb1EESX_EEDaSS_ST_EUlSS_E_NS1_11comp_targetILNS1_3genE9ELNS1_11target_archE1100ELNS1_3gpuE3ELNS1_3repE0EEENS1_30default_config_static_selectorELNS0_4arch9wavefront6targetE1EEEvT1_,"axG",@progbits,_ZN7rocprim17ROCPRIM_400000_NS6detail17trampoline_kernelINS0_14default_configENS1_20scan_config_selectorIfEEZZNS1_9scan_implILNS1_25lookback_scan_determinismE0ELb1ELb1ES3_N6thrust23THRUST_200600_302600_NS6detail15normal_iteratorINS9_10device_ptrIKfEEEENSB_INSC_IfEEEEfNS9_4plusIvEEfEEDaPvRmT3_T4_T5_mT6_P12ihipStream_tbENKUlT_T0_E_clISt17integral_constantIbLb1EESX_EEDaSS_ST_EUlSS_E_NS1_11comp_targetILNS1_3genE9ELNS1_11target_archE1100ELNS1_3gpuE3ELNS1_3repE0EEENS1_30default_config_static_selectorELNS0_4arch9wavefront6targetE1EEEvT1_,comdat
	.protected	_ZN7rocprim17ROCPRIM_400000_NS6detail17trampoline_kernelINS0_14default_configENS1_20scan_config_selectorIfEEZZNS1_9scan_implILNS1_25lookback_scan_determinismE0ELb1ELb1ES3_N6thrust23THRUST_200600_302600_NS6detail15normal_iteratorINS9_10device_ptrIKfEEEENSB_INSC_IfEEEEfNS9_4plusIvEEfEEDaPvRmT3_T4_T5_mT6_P12ihipStream_tbENKUlT_T0_E_clISt17integral_constantIbLb1EESX_EEDaSS_ST_EUlSS_E_NS1_11comp_targetILNS1_3genE9ELNS1_11target_archE1100ELNS1_3gpuE3ELNS1_3repE0EEENS1_30default_config_static_selectorELNS0_4arch9wavefront6targetE1EEEvT1_ ; -- Begin function _ZN7rocprim17ROCPRIM_400000_NS6detail17trampoline_kernelINS0_14default_configENS1_20scan_config_selectorIfEEZZNS1_9scan_implILNS1_25lookback_scan_determinismE0ELb1ELb1ES3_N6thrust23THRUST_200600_302600_NS6detail15normal_iteratorINS9_10device_ptrIKfEEEENSB_INSC_IfEEEEfNS9_4plusIvEEfEEDaPvRmT3_T4_T5_mT6_P12ihipStream_tbENKUlT_T0_E_clISt17integral_constantIbLb1EESX_EEDaSS_ST_EUlSS_E_NS1_11comp_targetILNS1_3genE9ELNS1_11target_archE1100ELNS1_3gpuE3ELNS1_3repE0EEENS1_30default_config_static_selectorELNS0_4arch9wavefront6targetE1EEEvT1_
	.globl	_ZN7rocprim17ROCPRIM_400000_NS6detail17trampoline_kernelINS0_14default_configENS1_20scan_config_selectorIfEEZZNS1_9scan_implILNS1_25lookback_scan_determinismE0ELb1ELb1ES3_N6thrust23THRUST_200600_302600_NS6detail15normal_iteratorINS9_10device_ptrIKfEEEENSB_INSC_IfEEEEfNS9_4plusIvEEfEEDaPvRmT3_T4_T5_mT6_P12ihipStream_tbENKUlT_T0_E_clISt17integral_constantIbLb1EESX_EEDaSS_ST_EUlSS_E_NS1_11comp_targetILNS1_3genE9ELNS1_11target_archE1100ELNS1_3gpuE3ELNS1_3repE0EEENS1_30default_config_static_selectorELNS0_4arch9wavefront6targetE1EEEvT1_
	.p2align	8
	.type	_ZN7rocprim17ROCPRIM_400000_NS6detail17trampoline_kernelINS0_14default_configENS1_20scan_config_selectorIfEEZZNS1_9scan_implILNS1_25lookback_scan_determinismE0ELb1ELb1ES3_N6thrust23THRUST_200600_302600_NS6detail15normal_iteratorINS9_10device_ptrIKfEEEENSB_INSC_IfEEEEfNS9_4plusIvEEfEEDaPvRmT3_T4_T5_mT6_P12ihipStream_tbENKUlT_T0_E_clISt17integral_constantIbLb1EESX_EEDaSS_ST_EUlSS_E_NS1_11comp_targetILNS1_3genE9ELNS1_11target_archE1100ELNS1_3gpuE3ELNS1_3repE0EEENS1_30default_config_static_selectorELNS0_4arch9wavefront6targetE1EEEvT1_,@function
_ZN7rocprim17ROCPRIM_400000_NS6detail17trampoline_kernelINS0_14default_configENS1_20scan_config_selectorIfEEZZNS1_9scan_implILNS1_25lookback_scan_determinismE0ELb1ELb1ES3_N6thrust23THRUST_200600_302600_NS6detail15normal_iteratorINS9_10device_ptrIKfEEEENSB_INSC_IfEEEEfNS9_4plusIvEEfEEDaPvRmT3_T4_T5_mT6_P12ihipStream_tbENKUlT_T0_E_clISt17integral_constantIbLb1EESX_EEDaSS_ST_EUlSS_E_NS1_11comp_targetILNS1_3genE9ELNS1_11target_archE1100ELNS1_3gpuE3ELNS1_3repE0EEENS1_30default_config_static_selectorELNS0_4arch9wavefront6targetE1EEEvT1_: ; @_ZN7rocprim17ROCPRIM_400000_NS6detail17trampoline_kernelINS0_14default_configENS1_20scan_config_selectorIfEEZZNS1_9scan_implILNS1_25lookback_scan_determinismE0ELb1ELb1ES3_N6thrust23THRUST_200600_302600_NS6detail15normal_iteratorINS9_10device_ptrIKfEEEENSB_INSC_IfEEEEfNS9_4plusIvEEfEEDaPvRmT3_T4_T5_mT6_P12ihipStream_tbENKUlT_T0_E_clISt17integral_constantIbLb1EESX_EEDaSS_ST_EUlSS_E_NS1_11comp_targetILNS1_3genE9ELNS1_11target_archE1100ELNS1_3gpuE3ELNS1_3repE0EEENS1_30default_config_static_selectorELNS0_4arch9wavefront6targetE1EEEvT1_
; %bb.0:
	.section	.rodata,"a",@progbits
	.p2align	6, 0x0
	.amdhsa_kernel _ZN7rocprim17ROCPRIM_400000_NS6detail17trampoline_kernelINS0_14default_configENS1_20scan_config_selectorIfEEZZNS1_9scan_implILNS1_25lookback_scan_determinismE0ELb1ELb1ES3_N6thrust23THRUST_200600_302600_NS6detail15normal_iteratorINS9_10device_ptrIKfEEEENSB_INSC_IfEEEEfNS9_4plusIvEEfEEDaPvRmT3_T4_T5_mT6_P12ihipStream_tbENKUlT_T0_E_clISt17integral_constantIbLb1EESX_EEDaSS_ST_EUlSS_E_NS1_11comp_targetILNS1_3genE9ELNS1_11target_archE1100ELNS1_3gpuE3ELNS1_3repE0EEENS1_30default_config_static_selectorELNS0_4arch9wavefront6targetE1EEEvT1_
		.amdhsa_group_segment_fixed_size 0
		.amdhsa_private_segment_fixed_size 0
		.amdhsa_kernarg_size 96
		.amdhsa_user_sgpr_count 2
		.amdhsa_user_sgpr_dispatch_ptr 0
		.amdhsa_user_sgpr_queue_ptr 0
		.amdhsa_user_sgpr_kernarg_segment_ptr 1
		.amdhsa_user_sgpr_dispatch_id 0
		.amdhsa_user_sgpr_kernarg_preload_length 0
		.amdhsa_user_sgpr_kernarg_preload_offset 0
		.amdhsa_user_sgpr_private_segment_size 0
		.amdhsa_uses_dynamic_stack 0
		.amdhsa_enable_private_segment 0
		.amdhsa_system_sgpr_workgroup_id_x 1
		.amdhsa_system_sgpr_workgroup_id_y 0
		.amdhsa_system_sgpr_workgroup_id_z 0
		.amdhsa_system_sgpr_workgroup_info 0
		.amdhsa_system_vgpr_workitem_id 0
		.amdhsa_next_free_vgpr 1
		.amdhsa_next_free_sgpr 0
		.amdhsa_accum_offset 4
		.amdhsa_reserve_vcc 0
		.amdhsa_float_round_mode_32 0
		.amdhsa_float_round_mode_16_64 0
		.amdhsa_float_denorm_mode_32 3
		.amdhsa_float_denorm_mode_16_64 3
		.amdhsa_dx10_clamp 1
		.amdhsa_ieee_mode 1
		.amdhsa_fp16_overflow 0
		.amdhsa_tg_split 0
		.amdhsa_exception_fp_ieee_invalid_op 0
		.amdhsa_exception_fp_denorm_src 0
		.amdhsa_exception_fp_ieee_div_zero 0
		.amdhsa_exception_fp_ieee_overflow 0
		.amdhsa_exception_fp_ieee_underflow 0
		.amdhsa_exception_fp_ieee_inexact 0
		.amdhsa_exception_int_div_zero 0
	.end_amdhsa_kernel
	.section	.text._ZN7rocprim17ROCPRIM_400000_NS6detail17trampoline_kernelINS0_14default_configENS1_20scan_config_selectorIfEEZZNS1_9scan_implILNS1_25lookback_scan_determinismE0ELb1ELb1ES3_N6thrust23THRUST_200600_302600_NS6detail15normal_iteratorINS9_10device_ptrIKfEEEENSB_INSC_IfEEEEfNS9_4plusIvEEfEEDaPvRmT3_T4_T5_mT6_P12ihipStream_tbENKUlT_T0_E_clISt17integral_constantIbLb1EESX_EEDaSS_ST_EUlSS_E_NS1_11comp_targetILNS1_3genE9ELNS1_11target_archE1100ELNS1_3gpuE3ELNS1_3repE0EEENS1_30default_config_static_selectorELNS0_4arch9wavefront6targetE1EEEvT1_,"axG",@progbits,_ZN7rocprim17ROCPRIM_400000_NS6detail17trampoline_kernelINS0_14default_configENS1_20scan_config_selectorIfEEZZNS1_9scan_implILNS1_25lookback_scan_determinismE0ELb1ELb1ES3_N6thrust23THRUST_200600_302600_NS6detail15normal_iteratorINS9_10device_ptrIKfEEEENSB_INSC_IfEEEEfNS9_4plusIvEEfEEDaPvRmT3_T4_T5_mT6_P12ihipStream_tbENKUlT_T0_E_clISt17integral_constantIbLb1EESX_EEDaSS_ST_EUlSS_E_NS1_11comp_targetILNS1_3genE9ELNS1_11target_archE1100ELNS1_3gpuE3ELNS1_3repE0EEENS1_30default_config_static_selectorELNS0_4arch9wavefront6targetE1EEEvT1_,comdat
.Lfunc_end36:
	.size	_ZN7rocprim17ROCPRIM_400000_NS6detail17trampoline_kernelINS0_14default_configENS1_20scan_config_selectorIfEEZZNS1_9scan_implILNS1_25lookback_scan_determinismE0ELb1ELb1ES3_N6thrust23THRUST_200600_302600_NS6detail15normal_iteratorINS9_10device_ptrIKfEEEENSB_INSC_IfEEEEfNS9_4plusIvEEfEEDaPvRmT3_T4_T5_mT6_P12ihipStream_tbENKUlT_T0_E_clISt17integral_constantIbLb1EESX_EEDaSS_ST_EUlSS_E_NS1_11comp_targetILNS1_3genE9ELNS1_11target_archE1100ELNS1_3gpuE3ELNS1_3repE0EEENS1_30default_config_static_selectorELNS0_4arch9wavefront6targetE1EEEvT1_, .Lfunc_end36-_ZN7rocprim17ROCPRIM_400000_NS6detail17trampoline_kernelINS0_14default_configENS1_20scan_config_selectorIfEEZZNS1_9scan_implILNS1_25lookback_scan_determinismE0ELb1ELb1ES3_N6thrust23THRUST_200600_302600_NS6detail15normal_iteratorINS9_10device_ptrIKfEEEENSB_INSC_IfEEEEfNS9_4plusIvEEfEEDaPvRmT3_T4_T5_mT6_P12ihipStream_tbENKUlT_T0_E_clISt17integral_constantIbLb1EESX_EEDaSS_ST_EUlSS_E_NS1_11comp_targetILNS1_3genE9ELNS1_11target_archE1100ELNS1_3gpuE3ELNS1_3repE0EEENS1_30default_config_static_selectorELNS0_4arch9wavefront6targetE1EEEvT1_
                                        ; -- End function
	.section	.AMDGPU.csdata,"",@progbits
; Kernel info:
; codeLenInByte = 0
; NumSgprs: 6
; NumVgprs: 0
; NumAgprs: 0
; TotalNumVgprs: 0
; ScratchSize: 0
; MemoryBound: 0
; FloatMode: 240
; IeeeMode: 1
; LDSByteSize: 0 bytes/workgroup (compile time only)
; SGPRBlocks: 0
; VGPRBlocks: 0
; NumSGPRsForWavesPerEU: 6
; NumVGPRsForWavesPerEU: 1
; AccumOffset: 4
; Occupancy: 8
; WaveLimiterHint : 0
; COMPUTE_PGM_RSRC2:SCRATCH_EN: 0
; COMPUTE_PGM_RSRC2:USER_SGPR: 2
; COMPUTE_PGM_RSRC2:TRAP_HANDLER: 0
; COMPUTE_PGM_RSRC2:TGID_X_EN: 1
; COMPUTE_PGM_RSRC2:TGID_Y_EN: 0
; COMPUTE_PGM_RSRC2:TGID_Z_EN: 0
; COMPUTE_PGM_RSRC2:TIDIG_COMP_CNT: 0
; COMPUTE_PGM_RSRC3_GFX90A:ACCUM_OFFSET: 0
; COMPUTE_PGM_RSRC3_GFX90A:TG_SPLIT: 0
	.section	.text._ZN7rocprim17ROCPRIM_400000_NS6detail17trampoline_kernelINS0_14default_configENS1_20scan_config_selectorIfEEZZNS1_9scan_implILNS1_25lookback_scan_determinismE0ELb1ELb1ES3_N6thrust23THRUST_200600_302600_NS6detail15normal_iteratorINS9_10device_ptrIKfEEEENSB_INSC_IfEEEEfNS9_4plusIvEEfEEDaPvRmT3_T4_T5_mT6_P12ihipStream_tbENKUlT_T0_E_clISt17integral_constantIbLb1EESX_EEDaSS_ST_EUlSS_E_NS1_11comp_targetILNS1_3genE8ELNS1_11target_archE1030ELNS1_3gpuE2ELNS1_3repE0EEENS1_30default_config_static_selectorELNS0_4arch9wavefront6targetE1EEEvT1_,"axG",@progbits,_ZN7rocprim17ROCPRIM_400000_NS6detail17trampoline_kernelINS0_14default_configENS1_20scan_config_selectorIfEEZZNS1_9scan_implILNS1_25lookback_scan_determinismE0ELb1ELb1ES3_N6thrust23THRUST_200600_302600_NS6detail15normal_iteratorINS9_10device_ptrIKfEEEENSB_INSC_IfEEEEfNS9_4plusIvEEfEEDaPvRmT3_T4_T5_mT6_P12ihipStream_tbENKUlT_T0_E_clISt17integral_constantIbLb1EESX_EEDaSS_ST_EUlSS_E_NS1_11comp_targetILNS1_3genE8ELNS1_11target_archE1030ELNS1_3gpuE2ELNS1_3repE0EEENS1_30default_config_static_selectorELNS0_4arch9wavefront6targetE1EEEvT1_,comdat
	.protected	_ZN7rocprim17ROCPRIM_400000_NS6detail17trampoline_kernelINS0_14default_configENS1_20scan_config_selectorIfEEZZNS1_9scan_implILNS1_25lookback_scan_determinismE0ELb1ELb1ES3_N6thrust23THRUST_200600_302600_NS6detail15normal_iteratorINS9_10device_ptrIKfEEEENSB_INSC_IfEEEEfNS9_4plusIvEEfEEDaPvRmT3_T4_T5_mT6_P12ihipStream_tbENKUlT_T0_E_clISt17integral_constantIbLb1EESX_EEDaSS_ST_EUlSS_E_NS1_11comp_targetILNS1_3genE8ELNS1_11target_archE1030ELNS1_3gpuE2ELNS1_3repE0EEENS1_30default_config_static_selectorELNS0_4arch9wavefront6targetE1EEEvT1_ ; -- Begin function _ZN7rocprim17ROCPRIM_400000_NS6detail17trampoline_kernelINS0_14default_configENS1_20scan_config_selectorIfEEZZNS1_9scan_implILNS1_25lookback_scan_determinismE0ELb1ELb1ES3_N6thrust23THRUST_200600_302600_NS6detail15normal_iteratorINS9_10device_ptrIKfEEEENSB_INSC_IfEEEEfNS9_4plusIvEEfEEDaPvRmT3_T4_T5_mT6_P12ihipStream_tbENKUlT_T0_E_clISt17integral_constantIbLb1EESX_EEDaSS_ST_EUlSS_E_NS1_11comp_targetILNS1_3genE8ELNS1_11target_archE1030ELNS1_3gpuE2ELNS1_3repE0EEENS1_30default_config_static_selectorELNS0_4arch9wavefront6targetE1EEEvT1_
	.globl	_ZN7rocprim17ROCPRIM_400000_NS6detail17trampoline_kernelINS0_14default_configENS1_20scan_config_selectorIfEEZZNS1_9scan_implILNS1_25lookback_scan_determinismE0ELb1ELb1ES3_N6thrust23THRUST_200600_302600_NS6detail15normal_iteratorINS9_10device_ptrIKfEEEENSB_INSC_IfEEEEfNS9_4plusIvEEfEEDaPvRmT3_T4_T5_mT6_P12ihipStream_tbENKUlT_T0_E_clISt17integral_constantIbLb1EESX_EEDaSS_ST_EUlSS_E_NS1_11comp_targetILNS1_3genE8ELNS1_11target_archE1030ELNS1_3gpuE2ELNS1_3repE0EEENS1_30default_config_static_selectorELNS0_4arch9wavefront6targetE1EEEvT1_
	.p2align	8
	.type	_ZN7rocprim17ROCPRIM_400000_NS6detail17trampoline_kernelINS0_14default_configENS1_20scan_config_selectorIfEEZZNS1_9scan_implILNS1_25lookback_scan_determinismE0ELb1ELb1ES3_N6thrust23THRUST_200600_302600_NS6detail15normal_iteratorINS9_10device_ptrIKfEEEENSB_INSC_IfEEEEfNS9_4plusIvEEfEEDaPvRmT3_T4_T5_mT6_P12ihipStream_tbENKUlT_T0_E_clISt17integral_constantIbLb1EESX_EEDaSS_ST_EUlSS_E_NS1_11comp_targetILNS1_3genE8ELNS1_11target_archE1030ELNS1_3gpuE2ELNS1_3repE0EEENS1_30default_config_static_selectorELNS0_4arch9wavefront6targetE1EEEvT1_,@function
_ZN7rocprim17ROCPRIM_400000_NS6detail17trampoline_kernelINS0_14default_configENS1_20scan_config_selectorIfEEZZNS1_9scan_implILNS1_25lookback_scan_determinismE0ELb1ELb1ES3_N6thrust23THRUST_200600_302600_NS6detail15normal_iteratorINS9_10device_ptrIKfEEEENSB_INSC_IfEEEEfNS9_4plusIvEEfEEDaPvRmT3_T4_T5_mT6_P12ihipStream_tbENKUlT_T0_E_clISt17integral_constantIbLb1EESX_EEDaSS_ST_EUlSS_E_NS1_11comp_targetILNS1_3genE8ELNS1_11target_archE1030ELNS1_3gpuE2ELNS1_3repE0EEENS1_30default_config_static_selectorELNS0_4arch9wavefront6targetE1EEEvT1_: ; @_ZN7rocprim17ROCPRIM_400000_NS6detail17trampoline_kernelINS0_14default_configENS1_20scan_config_selectorIfEEZZNS1_9scan_implILNS1_25lookback_scan_determinismE0ELb1ELb1ES3_N6thrust23THRUST_200600_302600_NS6detail15normal_iteratorINS9_10device_ptrIKfEEEENSB_INSC_IfEEEEfNS9_4plusIvEEfEEDaPvRmT3_T4_T5_mT6_P12ihipStream_tbENKUlT_T0_E_clISt17integral_constantIbLb1EESX_EEDaSS_ST_EUlSS_E_NS1_11comp_targetILNS1_3genE8ELNS1_11target_archE1030ELNS1_3gpuE2ELNS1_3repE0EEENS1_30default_config_static_selectorELNS0_4arch9wavefront6targetE1EEEvT1_
; %bb.0:
	.section	.rodata,"a",@progbits
	.p2align	6, 0x0
	.amdhsa_kernel _ZN7rocprim17ROCPRIM_400000_NS6detail17trampoline_kernelINS0_14default_configENS1_20scan_config_selectorIfEEZZNS1_9scan_implILNS1_25lookback_scan_determinismE0ELb1ELb1ES3_N6thrust23THRUST_200600_302600_NS6detail15normal_iteratorINS9_10device_ptrIKfEEEENSB_INSC_IfEEEEfNS9_4plusIvEEfEEDaPvRmT3_T4_T5_mT6_P12ihipStream_tbENKUlT_T0_E_clISt17integral_constantIbLb1EESX_EEDaSS_ST_EUlSS_E_NS1_11comp_targetILNS1_3genE8ELNS1_11target_archE1030ELNS1_3gpuE2ELNS1_3repE0EEENS1_30default_config_static_selectorELNS0_4arch9wavefront6targetE1EEEvT1_
		.amdhsa_group_segment_fixed_size 0
		.amdhsa_private_segment_fixed_size 0
		.amdhsa_kernarg_size 96
		.amdhsa_user_sgpr_count 2
		.amdhsa_user_sgpr_dispatch_ptr 0
		.amdhsa_user_sgpr_queue_ptr 0
		.amdhsa_user_sgpr_kernarg_segment_ptr 1
		.amdhsa_user_sgpr_dispatch_id 0
		.amdhsa_user_sgpr_kernarg_preload_length 0
		.amdhsa_user_sgpr_kernarg_preload_offset 0
		.amdhsa_user_sgpr_private_segment_size 0
		.amdhsa_uses_dynamic_stack 0
		.amdhsa_enable_private_segment 0
		.amdhsa_system_sgpr_workgroup_id_x 1
		.amdhsa_system_sgpr_workgroup_id_y 0
		.amdhsa_system_sgpr_workgroup_id_z 0
		.amdhsa_system_sgpr_workgroup_info 0
		.amdhsa_system_vgpr_workitem_id 0
		.amdhsa_next_free_vgpr 1
		.amdhsa_next_free_sgpr 0
		.amdhsa_accum_offset 4
		.amdhsa_reserve_vcc 0
		.amdhsa_float_round_mode_32 0
		.amdhsa_float_round_mode_16_64 0
		.amdhsa_float_denorm_mode_32 3
		.amdhsa_float_denorm_mode_16_64 3
		.amdhsa_dx10_clamp 1
		.amdhsa_ieee_mode 1
		.amdhsa_fp16_overflow 0
		.amdhsa_tg_split 0
		.amdhsa_exception_fp_ieee_invalid_op 0
		.amdhsa_exception_fp_denorm_src 0
		.amdhsa_exception_fp_ieee_div_zero 0
		.amdhsa_exception_fp_ieee_overflow 0
		.amdhsa_exception_fp_ieee_underflow 0
		.amdhsa_exception_fp_ieee_inexact 0
		.amdhsa_exception_int_div_zero 0
	.end_amdhsa_kernel
	.section	.text._ZN7rocprim17ROCPRIM_400000_NS6detail17trampoline_kernelINS0_14default_configENS1_20scan_config_selectorIfEEZZNS1_9scan_implILNS1_25lookback_scan_determinismE0ELb1ELb1ES3_N6thrust23THRUST_200600_302600_NS6detail15normal_iteratorINS9_10device_ptrIKfEEEENSB_INSC_IfEEEEfNS9_4plusIvEEfEEDaPvRmT3_T4_T5_mT6_P12ihipStream_tbENKUlT_T0_E_clISt17integral_constantIbLb1EESX_EEDaSS_ST_EUlSS_E_NS1_11comp_targetILNS1_3genE8ELNS1_11target_archE1030ELNS1_3gpuE2ELNS1_3repE0EEENS1_30default_config_static_selectorELNS0_4arch9wavefront6targetE1EEEvT1_,"axG",@progbits,_ZN7rocprim17ROCPRIM_400000_NS6detail17trampoline_kernelINS0_14default_configENS1_20scan_config_selectorIfEEZZNS1_9scan_implILNS1_25lookback_scan_determinismE0ELb1ELb1ES3_N6thrust23THRUST_200600_302600_NS6detail15normal_iteratorINS9_10device_ptrIKfEEEENSB_INSC_IfEEEEfNS9_4plusIvEEfEEDaPvRmT3_T4_T5_mT6_P12ihipStream_tbENKUlT_T0_E_clISt17integral_constantIbLb1EESX_EEDaSS_ST_EUlSS_E_NS1_11comp_targetILNS1_3genE8ELNS1_11target_archE1030ELNS1_3gpuE2ELNS1_3repE0EEENS1_30default_config_static_selectorELNS0_4arch9wavefront6targetE1EEEvT1_,comdat
.Lfunc_end37:
	.size	_ZN7rocprim17ROCPRIM_400000_NS6detail17trampoline_kernelINS0_14default_configENS1_20scan_config_selectorIfEEZZNS1_9scan_implILNS1_25lookback_scan_determinismE0ELb1ELb1ES3_N6thrust23THRUST_200600_302600_NS6detail15normal_iteratorINS9_10device_ptrIKfEEEENSB_INSC_IfEEEEfNS9_4plusIvEEfEEDaPvRmT3_T4_T5_mT6_P12ihipStream_tbENKUlT_T0_E_clISt17integral_constantIbLb1EESX_EEDaSS_ST_EUlSS_E_NS1_11comp_targetILNS1_3genE8ELNS1_11target_archE1030ELNS1_3gpuE2ELNS1_3repE0EEENS1_30default_config_static_selectorELNS0_4arch9wavefront6targetE1EEEvT1_, .Lfunc_end37-_ZN7rocprim17ROCPRIM_400000_NS6detail17trampoline_kernelINS0_14default_configENS1_20scan_config_selectorIfEEZZNS1_9scan_implILNS1_25lookback_scan_determinismE0ELb1ELb1ES3_N6thrust23THRUST_200600_302600_NS6detail15normal_iteratorINS9_10device_ptrIKfEEEENSB_INSC_IfEEEEfNS9_4plusIvEEfEEDaPvRmT3_T4_T5_mT6_P12ihipStream_tbENKUlT_T0_E_clISt17integral_constantIbLb1EESX_EEDaSS_ST_EUlSS_E_NS1_11comp_targetILNS1_3genE8ELNS1_11target_archE1030ELNS1_3gpuE2ELNS1_3repE0EEENS1_30default_config_static_selectorELNS0_4arch9wavefront6targetE1EEEvT1_
                                        ; -- End function
	.section	.AMDGPU.csdata,"",@progbits
; Kernel info:
; codeLenInByte = 0
; NumSgprs: 6
; NumVgprs: 0
; NumAgprs: 0
; TotalNumVgprs: 0
; ScratchSize: 0
; MemoryBound: 0
; FloatMode: 240
; IeeeMode: 1
; LDSByteSize: 0 bytes/workgroup (compile time only)
; SGPRBlocks: 0
; VGPRBlocks: 0
; NumSGPRsForWavesPerEU: 6
; NumVGPRsForWavesPerEU: 1
; AccumOffset: 4
; Occupancy: 8
; WaveLimiterHint : 0
; COMPUTE_PGM_RSRC2:SCRATCH_EN: 0
; COMPUTE_PGM_RSRC2:USER_SGPR: 2
; COMPUTE_PGM_RSRC2:TRAP_HANDLER: 0
; COMPUTE_PGM_RSRC2:TGID_X_EN: 1
; COMPUTE_PGM_RSRC2:TGID_Y_EN: 0
; COMPUTE_PGM_RSRC2:TGID_Z_EN: 0
; COMPUTE_PGM_RSRC2:TIDIG_COMP_CNT: 0
; COMPUTE_PGM_RSRC3_GFX90A:ACCUM_OFFSET: 0
; COMPUTE_PGM_RSRC3_GFX90A:TG_SPLIT: 0
	.section	.text._ZN7rocprim17ROCPRIM_400000_NS6detail17trampoline_kernelINS0_14default_configENS1_20scan_config_selectorIfEEZZNS1_9scan_implILNS1_25lookback_scan_determinismE0ELb1ELb1ES3_N6thrust23THRUST_200600_302600_NS6detail15normal_iteratorINS9_10device_ptrIKfEEEENSB_INSC_IfEEEEfNS9_4plusIvEEfEEDaPvRmT3_T4_T5_mT6_P12ihipStream_tbENKUlT_T0_E_clISt17integral_constantIbLb1EESX_EEDaSS_ST_EUlSS_E0_NS1_11comp_targetILNS1_3genE0ELNS1_11target_archE4294967295ELNS1_3gpuE0ELNS1_3repE0EEENS1_30default_config_static_selectorELNS0_4arch9wavefront6targetE1EEEvT1_,"axG",@progbits,_ZN7rocprim17ROCPRIM_400000_NS6detail17trampoline_kernelINS0_14default_configENS1_20scan_config_selectorIfEEZZNS1_9scan_implILNS1_25lookback_scan_determinismE0ELb1ELb1ES3_N6thrust23THRUST_200600_302600_NS6detail15normal_iteratorINS9_10device_ptrIKfEEEENSB_INSC_IfEEEEfNS9_4plusIvEEfEEDaPvRmT3_T4_T5_mT6_P12ihipStream_tbENKUlT_T0_E_clISt17integral_constantIbLb1EESX_EEDaSS_ST_EUlSS_E0_NS1_11comp_targetILNS1_3genE0ELNS1_11target_archE4294967295ELNS1_3gpuE0ELNS1_3repE0EEENS1_30default_config_static_selectorELNS0_4arch9wavefront6targetE1EEEvT1_,comdat
	.protected	_ZN7rocprim17ROCPRIM_400000_NS6detail17trampoline_kernelINS0_14default_configENS1_20scan_config_selectorIfEEZZNS1_9scan_implILNS1_25lookback_scan_determinismE0ELb1ELb1ES3_N6thrust23THRUST_200600_302600_NS6detail15normal_iteratorINS9_10device_ptrIKfEEEENSB_INSC_IfEEEEfNS9_4plusIvEEfEEDaPvRmT3_T4_T5_mT6_P12ihipStream_tbENKUlT_T0_E_clISt17integral_constantIbLb1EESX_EEDaSS_ST_EUlSS_E0_NS1_11comp_targetILNS1_3genE0ELNS1_11target_archE4294967295ELNS1_3gpuE0ELNS1_3repE0EEENS1_30default_config_static_selectorELNS0_4arch9wavefront6targetE1EEEvT1_ ; -- Begin function _ZN7rocprim17ROCPRIM_400000_NS6detail17trampoline_kernelINS0_14default_configENS1_20scan_config_selectorIfEEZZNS1_9scan_implILNS1_25lookback_scan_determinismE0ELb1ELb1ES3_N6thrust23THRUST_200600_302600_NS6detail15normal_iteratorINS9_10device_ptrIKfEEEENSB_INSC_IfEEEEfNS9_4plusIvEEfEEDaPvRmT3_T4_T5_mT6_P12ihipStream_tbENKUlT_T0_E_clISt17integral_constantIbLb1EESX_EEDaSS_ST_EUlSS_E0_NS1_11comp_targetILNS1_3genE0ELNS1_11target_archE4294967295ELNS1_3gpuE0ELNS1_3repE0EEENS1_30default_config_static_selectorELNS0_4arch9wavefront6targetE1EEEvT1_
	.globl	_ZN7rocprim17ROCPRIM_400000_NS6detail17trampoline_kernelINS0_14default_configENS1_20scan_config_selectorIfEEZZNS1_9scan_implILNS1_25lookback_scan_determinismE0ELb1ELb1ES3_N6thrust23THRUST_200600_302600_NS6detail15normal_iteratorINS9_10device_ptrIKfEEEENSB_INSC_IfEEEEfNS9_4plusIvEEfEEDaPvRmT3_T4_T5_mT6_P12ihipStream_tbENKUlT_T0_E_clISt17integral_constantIbLb1EESX_EEDaSS_ST_EUlSS_E0_NS1_11comp_targetILNS1_3genE0ELNS1_11target_archE4294967295ELNS1_3gpuE0ELNS1_3repE0EEENS1_30default_config_static_selectorELNS0_4arch9wavefront6targetE1EEEvT1_
	.p2align	8
	.type	_ZN7rocprim17ROCPRIM_400000_NS6detail17trampoline_kernelINS0_14default_configENS1_20scan_config_selectorIfEEZZNS1_9scan_implILNS1_25lookback_scan_determinismE0ELb1ELb1ES3_N6thrust23THRUST_200600_302600_NS6detail15normal_iteratorINS9_10device_ptrIKfEEEENSB_INSC_IfEEEEfNS9_4plusIvEEfEEDaPvRmT3_T4_T5_mT6_P12ihipStream_tbENKUlT_T0_E_clISt17integral_constantIbLb1EESX_EEDaSS_ST_EUlSS_E0_NS1_11comp_targetILNS1_3genE0ELNS1_11target_archE4294967295ELNS1_3gpuE0ELNS1_3repE0EEENS1_30default_config_static_selectorELNS0_4arch9wavefront6targetE1EEEvT1_,@function
_ZN7rocprim17ROCPRIM_400000_NS6detail17trampoline_kernelINS0_14default_configENS1_20scan_config_selectorIfEEZZNS1_9scan_implILNS1_25lookback_scan_determinismE0ELb1ELb1ES3_N6thrust23THRUST_200600_302600_NS6detail15normal_iteratorINS9_10device_ptrIKfEEEENSB_INSC_IfEEEEfNS9_4plusIvEEfEEDaPvRmT3_T4_T5_mT6_P12ihipStream_tbENKUlT_T0_E_clISt17integral_constantIbLb1EESX_EEDaSS_ST_EUlSS_E0_NS1_11comp_targetILNS1_3genE0ELNS1_11target_archE4294967295ELNS1_3gpuE0ELNS1_3repE0EEENS1_30default_config_static_selectorELNS0_4arch9wavefront6targetE1EEEvT1_: ; @_ZN7rocprim17ROCPRIM_400000_NS6detail17trampoline_kernelINS0_14default_configENS1_20scan_config_selectorIfEEZZNS1_9scan_implILNS1_25lookback_scan_determinismE0ELb1ELb1ES3_N6thrust23THRUST_200600_302600_NS6detail15normal_iteratorINS9_10device_ptrIKfEEEENSB_INSC_IfEEEEfNS9_4plusIvEEfEEDaPvRmT3_T4_T5_mT6_P12ihipStream_tbENKUlT_T0_E_clISt17integral_constantIbLb1EESX_EEDaSS_ST_EUlSS_E0_NS1_11comp_targetILNS1_3genE0ELNS1_11target_archE4294967295ELNS1_3gpuE0ELNS1_3repE0EEENS1_30default_config_static_selectorELNS0_4arch9wavefront6targetE1EEEvT1_
; %bb.0:
	.section	.rodata,"a",@progbits
	.p2align	6, 0x0
	.amdhsa_kernel _ZN7rocprim17ROCPRIM_400000_NS6detail17trampoline_kernelINS0_14default_configENS1_20scan_config_selectorIfEEZZNS1_9scan_implILNS1_25lookback_scan_determinismE0ELb1ELb1ES3_N6thrust23THRUST_200600_302600_NS6detail15normal_iteratorINS9_10device_ptrIKfEEEENSB_INSC_IfEEEEfNS9_4plusIvEEfEEDaPvRmT3_T4_T5_mT6_P12ihipStream_tbENKUlT_T0_E_clISt17integral_constantIbLb1EESX_EEDaSS_ST_EUlSS_E0_NS1_11comp_targetILNS1_3genE0ELNS1_11target_archE4294967295ELNS1_3gpuE0ELNS1_3repE0EEENS1_30default_config_static_selectorELNS0_4arch9wavefront6targetE1EEEvT1_
		.amdhsa_group_segment_fixed_size 0
		.amdhsa_private_segment_fixed_size 0
		.amdhsa_kernarg_size 32
		.amdhsa_user_sgpr_count 2
		.amdhsa_user_sgpr_dispatch_ptr 0
		.amdhsa_user_sgpr_queue_ptr 0
		.amdhsa_user_sgpr_kernarg_segment_ptr 1
		.amdhsa_user_sgpr_dispatch_id 0
		.amdhsa_user_sgpr_kernarg_preload_length 0
		.amdhsa_user_sgpr_kernarg_preload_offset 0
		.amdhsa_user_sgpr_private_segment_size 0
		.amdhsa_uses_dynamic_stack 0
		.amdhsa_enable_private_segment 0
		.amdhsa_system_sgpr_workgroup_id_x 1
		.amdhsa_system_sgpr_workgroup_id_y 0
		.amdhsa_system_sgpr_workgroup_id_z 0
		.amdhsa_system_sgpr_workgroup_info 0
		.amdhsa_system_vgpr_workitem_id 0
		.amdhsa_next_free_vgpr 1
		.amdhsa_next_free_sgpr 0
		.amdhsa_accum_offset 4
		.amdhsa_reserve_vcc 0
		.amdhsa_float_round_mode_32 0
		.amdhsa_float_round_mode_16_64 0
		.amdhsa_float_denorm_mode_32 3
		.amdhsa_float_denorm_mode_16_64 3
		.amdhsa_dx10_clamp 1
		.amdhsa_ieee_mode 1
		.amdhsa_fp16_overflow 0
		.amdhsa_tg_split 0
		.amdhsa_exception_fp_ieee_invalid_op 0
		.amdhsa_exception_fp_denorm_src 0
		.amdhsa_exception_fp_ieee_div_zero 0
		.amdhsa_exception_fp_ieee_overflow 0
		.amdhsa_exception_fp_ieee_underflow 0
		.amdhsa_exception_fp_ieee_inexact 0
		.amdhsa_exception_int_div_zero 0
	.end_amdhsa_kernel
	.section	.text._ZN7rocprim17ROCPRIM_400000_NS6detail17trampoline_kernelINS0_14default_configENS1_20scan_config_selectorIfEEZZNS1_9scan_implILNS1_25lookback_scan_determinismE0ELb1ELb1ES3_N6thrust23THRUST_200600_302600_NS6detail15normal_iteratorINS9_10device_ptrIKfEEEENSB_INSC_IfEEEEfNS9_4plusIvEEfEEDaPvRmT3_T4_T5_mT6_P12ihipStream_tbENKUlT_T0_E_clISt17integral_constantIbLb1EESX_EEDaSS_ST_EUlSS_E0_NS1_11comp_targetILNS1_3genE0ELNS1_11target_archE4294967295ELNS1_3gpuE0ELNS1_3repE0EEENS1_30default_config_static_selectorELNS0_4arch9wavefront6targetE1EEEvT1_,"axG",@progbits,_ZN7rocprim17ROCPRIM_400000_NS6detail17trampoline_kernelINS0_14default_configENS1_20scan_config_selectorIfEEZZNS1_9scan_implILNS1_25lookback_scan_determinismE0ELb1ELb1ES3_N6thrust23THRUST_200600_302600_NS6detail15normal_iteratorINS9_10device_ptrIKfEEEENSB_INSC_IfEEEEfNS9_4plusIvEEfEEDaPvRmT3_T4_T5_mT6_P12ihipStream_tbENKUlT_T0_E_clISt17integral_constantIbLb1EESX_EEDaSS_ST_EUlSS_E0_NS1_11comp_targetILNS1_3genE0ELNS1_11target_archE4294967295ELNS1_3gpuE0ELNS1_3repE0EEENS1_30default_config_static_selectorELNS0_4arch9wavefront6targetE1EEEvT1_,comdat
.Lfunc_end38:
	.size	_ZN7rocprim17ROCPRIM_400000_NS6detail17trampoline_kernelINS0_14default_configENS1_20scan_config_selectorIfEEZZNS1_9scan_implILNS1_25lookback_scan_determinismE0ELb1ELb1ES3_N6thrust23THRUST_200600_302600_NS6detail15normal_iteratorINS9_10device_ptrIKfEEEENSB_INSC_IfEEEEfNS9_4plusIvEEfEEDaPvRmT3_T4_T5_mT6_P12ihipStream_tbENKUlT_T0_E_clISt17integral_constantIbLb1EESX_EEDaSS_ST_EUlSS_E0_NS1_11comp_targetILNS1_3genE0ELNS1_11target_archE4294967295ELNS1_3gpuE0ELNS1_3repE0EEENS1_30default_config_static_selectorELNS0_4arch9wavefront6targetE1EEEvT1_, .Lfunc_end38-_ZN7rocprim17ROCPRIM_400000_NS6detail17trampoline_kernelINS0_14default_configENS1_20scan_config_selectorIfEEZZNS1_9scan_implILNS1_25lookback_scan_determinismE0ELb1ELb1ES3_N6thrust23THRUST_200600_302600_NS6detail15normal_iteratorINS9_10device_ptrIKfEEEENSB_INSC_IfEEEEfNS9_4plusIvEEfEEDaPvRmT3_T4_T5_mT6_P12ihipStream_tbENKUlT_T0_E_clISt17integral_constantIbLb1EESX_EEDaSS_ST_EUlSS_E0_NS1_11comp_targetILNS1_3genE0ELNS1_11target_archE4294967295ELNS1_3gpuE0ELNS1_3repE0EEENS1_30default_config_static_selectorELNS0_4arch9wavefront6targetE1EEEvT1_
                                        ; -- End function
	.section	.AMDGPU.csdata,"",@progbits
; Kernel info:
; codeLenInByte = 0
; NumSgprs: 6
; NumVgprs: 0
; NumAgprs: 0
; TotalNumVgprs: 0
; ScratchSize: 0
; MemoryBound: 0
; FloatMode: 240
; IeeeMode: 1
; LDSByteSize: 0 bytes/workgroup (compile time only)
; SGPRBlocks: 0
; VGPRBlocks: 0
; NumSGPRsForWavesPerEU: 6
; NumVGPRsForWavesPerEU: 1
; AccumOffset: 4
; Occupancy: 8
; WaveLimiterHint : 0
; COMPUTE_PGM_RSRC2:SCRATCH_EN: 0
; COMPUTE_PGM_RSRC2:USER_SGPR: 2
; COMPUTE_PGM_RSRC2:TRAP_HANDLER: 0
; COMPUTE_PGM_RSRC2:TGID_X_EN: 1
; COMPUTE_PGM_RSRC2:TGID_Y_EN: 0
; COMPUTE_PGM_RSRC2:TGID_Z_EN: 0
; COMPUTE_PGM_RSRC2:TIDIG_COMP_CNT: 0
; COMPUTE_PGM_RSRC3_GFX90A:ACCUM_OFFSET: 0
; COMPUTE_PGM_RSRC3_GFX90A:TG_SPLIT: 0
	.section	.text._ZN7rocprim17ROCPRIM_400000_NS6detail17trampoline_kernelINS0_14default_configENS1_20scan_config_selectorIfEEZZNS1_9scan_implILNS1_25lookback_scan_determinismE0ELb1ELb1ES3_N6thrust23THRUST_200600_302600_NS6detail15normal_iteratorINS9_10device_ptrIKfEEEENSB_INSC_IfEEEEfNS9_4plusIvEEfEEDaPvRmT3_T4_T5_mT6_P12ihipStream_tbENKUlT_T0_E_clISt17integral_constantIbLb1EESX_EEDaSS_ST_EUlSS_E0_NS1_11comp_targetILNS1_3genE5ELNS1_11target_archE942ELNS1_3gpuE9ELNS1_3repE0EEENS1_30default_config_static_selectorELNS0_4arch9wavefront6targetE1EEEvT1_,"axG",@progbits,_ZN7rocprim17ROCPRIM_400000_NS6detail17trampoline_kernelINS0_14default_configENS1_20scan_config_selectorIfEEZZNS1_9scan_implILNS1_25lookback_scan_determinismE0ELb1ELb1ES3_N6thrust23THRUST_200600_302600_NS6detail15normal_iteratorINS9_10device_ptrIKfEEEENSB_INSC_IfEEEEfNS9_4plusIvEEfEEDaPvRmT3_T4_T5_mT6_P12ihipStream_tbENKUlT_T0_E_clISt17integral_constantIbLb1EESX_EEDaSS_ST_EUlSS_E0_NS1_11comp_targetILNS1_3genE5ELNS1_11target_archE942ELNS1_3gpuE9ELNS1_3repE0EEENS1_30default_config_static_selectorELNS0_4arch9wavefront6targetE1EEEvT1_,comdat
	.protected	_ZN7rocprim17ROCPRIM_400000_NS6detail17trampoline_kernelINS0_14default_configENS1_20scan_config_selectorIfEEZZNS1_9scan_implILNS1_25lookback_scan_determinismE0ELb1ELb1ES3_N6thrust23THRUST_200600_302600_NS6detail15normal_iteratorINS9_10device_ptrIKfEEEENSB_INSC_IfEEEEfNS9_4plusIvEEfEEDaPvRmT3_T4_T5_mT6_P12ihipStream_tbENKUlT_T0_E_clISt17integral_constantIbLb1EESX_EEDaSS_ST_EUlSS_E0_NS1_11comp_targetILNS1_3genE5ELNS1_11target_archE942ELNS1_3gpuE9ELNS1_3repE0EEENS1_30default_config_static_selectorELNS0_4arch9wavefront6targetE1EEEvT1_ ; -- Begin function _ZN7rocprim17ROCPRIM_400000_NS6detail17trampoline_kernelINS0_14default_configENS1_20scan_config_selectorIfEEZZNS1_9scan_implILNS1_25lookback_scan_determinismE0ELb1ELb1ES3_N6thrust23THRUST_200600_302600_NS6detail15normal_iteratorINS9_10device_ptrIKfEEEENSB_INSC_IfEEEEfNS9_4plusIvEEfEEDaPvRmT3_T4_T5_mT6_P12ihipStream_tbENKUlT_T0_E_clISt17integral_constantIbLb1EESX_EEDaSS_ST_EUlSS_E0_NS1_11comp_targetILNS1_3genE5ELNS1_11target_archE942ELNS1_3gpuE9ELNS1_3repE0EEENS1_30default_config_static_selectorELNS0_4arch9wavefront6targetE1EEEvT1_
	.globl	_ZN7rocprim17ROCPRIM_400000_NS6detail17trampoline_kernelINS0_14default_configENS1_20scan_config_selectorIfEEZZNS1_9scan_implILNS1_25lookback_scan_determinismE0ELb1ELb1ES3_N6thrust23THRUST_200600_302600_NS6detail15normal_iteratorINS9_10device_ptrIKfEEEENSB_INSC_IfEEEEfNS9_4plusIvEEfEEDaPvRmT3_T4_T5_mT6_P12ihipStream_tbENKUlT_T0_E_clISt17integral_constantIbLb1EESX_EEDaSS_ST_EUlSS_E0_NS1_11comp_targetILNS1_3genE5ELNS1_11target_archE942ELNS1_3gpuE9ELNS1_3repE0EEENS1_30default_config_static_selectorELNS0_4arch9wavefront6targetE1EEEvT1_
	.p2align	8
	.type	_ZN7rocprim17ROCPRIM_400000_NS6detail17trampoline_kernelINS0_14default_configENS1_20scan_config_selectorIfEEZZNS1_9scan_implILNS1_25lookback_scan_determinismE0ELb1ELb1ES3_N6thrust23THRUST_200600_302600_NS6detail15normal_iteratorINS9_10device_ptrIKfEEEENSB_INSC_IfEEEEfNS9_4plusIvEEfEEDaPvRmT3_T4_T5_mT6_P12ihipStream_tbENKUlT_T0_E_clISt17integral_constantIbLb1EESX_EEDaSS_ST_EUlSS_E0_NS1_11comp_targetILNS1_3genE5ELNS1_11target_archE942ELNS1_3gpuE9ELNS1_3repE0EEENS1_30default_config_static_selectorELNS0_4arch9wavefront6targetE1EEEvT1_,@function
_ZN7rocprim17ROCPRIM_400000_NS6detail17trampoline_kernelINS0_14default_configENS1_20scan_config_selectorIfEEZZNS1_9scan_implILNS1_25lookback_scan_determinismE0ELb1ELb1ES3_N6thrust23THRUST_200600_302600_NS6detail15normal_iteratorINS9_10device_ptrIKfEEEENSB_INSC_IfEEEEfNS9_4plusIvEEfEEDaPvRmT3_T4_T5_mT6_P12ihipStream_tbENKUlT_T0_E_clISt17integral_constantIbLb1EESX_EEDaSS_ST_EUlSS_E0_NS1_11comp_targetILNS1_3genE5ELNS1_11target_archE942ELNS1_3gpuE9ELNS1_3repE0EEENS1_30default_config_static_selectorELNS0_4arch9wavefront6targetE1EEEvT1_: ; @_ZN7rocprim17ROCPRIM_400000_NS6detail17trampoline_kernelINS0_14default_configENS1_20scan_config_selectorIfEEZZNS1_9scan_implILNS1_25lookback_scan_determinismE0ELb1ELb1ES3_N6thrust23THRUST_200600_302600_NS6detail15normal_iteratorINS9_10device_ptrIKfEEEENSB_INSC_IfEEEEfNS9_4plusIvEEfEEDaPvRmT3_T4_T5_mT6_P12ihipStream_tbENKUlT_T0_E_clISt17integral_constantIbLb1EESX_EEDaSS_ST_EUlSS_E0_NS1_11comp_targetILNS1_3genE5ELNS1_11target_archE942ELNS1_3gpuE9ELNS1_3repE0EEENS1_30default_config_static_selectorELNS0_4arch9wavefront6targetE1EEEvT1_
; %bb.0:
	s_load_dwordx4 s[52:55], s[0:1], 0x0
	v_lshlrev_b32_e32 v30, 2, v0
	s_waitcnt lgkmcnt(0)
	s_load_dword s33, s[52:53], 0x0
	v_cmp_gt_u32_e32 vcc, s54, v0
	s_waitcnt lgkmcnt(0)
	v_mov_b32_e32 v1, s33
	s_and_saveexec_b64 s[2:3], vcc
	s_cbranch_execz .LBB39_2
; %bb.1:
	global_load_dword v1, v30, s[52:53]
.LBB39_2:
	s_or_b64 exec, exec, s[2:3]
	v_or_b32_e32 v2, 0x100, v0
	v_cmp_gt_u32_e64 s[48:49], s54, v2
	v_mov_b32_e32 v2, s33
	s_and_saveexec_b64 s[2:3], s[48:49]
	s_cbranch_execz .LBB39_4
; %bb.3:
	global_load_dword v2, v30, s[52:53] offset:1024
.LBB39_4:
	s_or_b64 exec, exec, s[2:3]
	v_or_b32_e32 v3, 0x200, v0
	v_cmp_gt_u32_e64 s[2:3], s54, v3
	v_mov_b32_e32 v3, s33
	s_and_saveexec_b64 s[4:5], s[2:3]
	s_cbranch_execz .LBB39_6
; %bb.5:
	global_load_dword v3, v30, s[52:53] offset:2048
.LBB39_6:
	;; [unrolled: 9-line block ×3, first 2 shown]
	s_or_b64 exec, exec, s[6:7]
	v_or_b32_e32 v6, 0x400, v0
	v_cmp_gt_u32_e64 s[6:7], s54, v6
	v_mov_b32_e32 v5, s33
	s_and_saveexec_b64 s[8:9], s[6:7]
	s_cbranch_execz .LBB39_10
; %bb.9:
	v_lshlrev_b32_e32 v5, 2, v6
	global_load_dword v5, v5, s[52:53]
.LBB39_10:
	s_or_b64 exec, exec, s[8:9]
	v_or_b32_e32 v7, 0x500, v0
	v_cmp_gt_u32_e64 s[8:9], s54, v7
	v_mov_b32_e32 v6, s33
	s_and_saveexec_b64 s[10:11], s[8:9]
	s_cbranch_execz .LBB39_12
; %bb.11:
	v_lshlrev_b32_e32 v6, 2, v7
	global_load_dword v6, v6, s[52:53]
.LBB39_12:
	;; [unrolled: 10-line block ×19, first 2 shown]
	s_or_b64 exec, exec, s[46:47]
	s_load_dword s58, s[0:1], 0x10
	v_or_b32_e32 v25, 0x1700, v0
	v_cmp_gt_u32_e64 s[46:47], s54, v25
	v_mov_b32_e32 v24, s33
	s_and_saveexec_b64 s[50:51], s[46:47]
	s_cbranch_execz .LBB39_48
; %bb.47:
	v_lshlrev_b32_e32 v24, 2, v25
	global_load_dword v24, v24, s[52:53]
.LBB39_48:
	s_or_b64 exec, exec, s[50:51]
	s_movk_i32 s33, 0x5c
	s_waitcnt vmcnt(0)
	ds_write2st64_b32 v30, v1, v2 offset1:4
	ds_write2st64_b32 v30, v3, v4 offset0:8 offset1:12
	ds_write2st64_b32 v30, v5, v6 offset0:16 offset1:20
	;; [unrolled: 1-line block ×11, first 2 shown]
	v_mad_u32_u24 v1, v0, s33, v30
	s_waitcnt lgkmcnt(0)
	s_barrier
	ds_read_b128 v[22:25], v1
	ds_read_b128 v[18:21], v1 offset:16
	ds_read_b128 v[14:17], v1 offset:32
	;; [unrolled: 1-line block ×5, first 2 shown]
	s_waitcnt lgkmcnt(5)
	v_add_f32_e32 v26, v22, v23
	v_add_f32_e32 v26, v26, v24
	v_add_f32_e32 v26, v26, v25
	s_waitcnt lgkmcnt(4)
	v_add_f32_e32 v26, v26, v18
	v_add_f32_e32 v26, v26, v19
	v_add_f32_e32 v26, v26, v20
	v_add_f32_e32 v26, v26, v21
	s_waitcnt lgkmcnt(3)
	v_add_f32_e32 v26, v26, v14
	;; [unrolled: 5-line block ×5, first 2 shown]
	v_add_f32_e32 v26, v26, v3
	v_add_f32_e32 v26, v26, v4
	;; [unrolled: 1-line block ×3, first 2 shown]
	v_lshrrev_b32_e32 v26, 3, v0
	v_and_b32_e32 v27, 28, v26
	v_add_u32_e32 v27, v30, v27
	v_cmp_gt_u32_e64 s[50:51], 64, v0
	s_barrier
	ds_write_b32 v27, v5
	s_waitcnt lgkmcnt(0)
	s_barrier
	s_and_saveexec_b64 s[56:57], s[50:51]
	s_cbranch_execz .LBB39_50
; %bb.49:
	v_add_lshl_u32 v31, v26, v30, 2
	ds_read2_b32 v[26:27], v31 offset1:1
	ds_read2_b32 v[28:29], v31 offset0:2 offset1:3
	v_mbcnt_lo_u32_b32 v32, -1, 0
	v_mbcnt_hi_u32_b32 v32, -1, v32
	v_and_b32_e32 v33, 15, v32
	s_waitcnt lgkmcnt(1)
	v_add_f32_e32 v27, v26, v27
	s_waitcnt lgkmcnt(0)
	v_add_f32_e32 v27, v27, v28
	v_add_f32_e32 v27, v27, v29
	v_cmp_eq_u32_e64 s[50:51], 0, v33
	v_cmp_lt_u32_e64 s[52:53], 3, v33
	v_mov_b32_dpp v28, v27 row_shr:1 row_mask:0xf bank_mask:0xf
	v_add_f32_e32 v28, v27, v28
	v_cndmask_b32_e64 v27, v28, v27, s[50:51]
	v_cmp_lt_u32_e64 s[50:51], 1, v33
	v_cmp_lt_u32_e64 s[54:55], 31, v32
	v_mov_b32_dpp v28, v27 row_shr:2 row_mask:0xf bank_mask:0xf
	v_add_f32_e32 v28, v27, v28
	v_cndmask_b32_e64 v28, v27, v28, s[50:51]
	; wave barrier
	s_nop 1
	v_mov_b32_dpp v29, v28 row_shr:4 row_mask:0xf bank_mask:0xf
	v_add_f32_e32 v29, v28, v29
	v_cndmask_b32_e64 v28, v28, v29, s[52:53]
	v_cmp_lt_u32_e64 s[52:53], 7, v33
	v_and_b32_e32 v33, 16, v32
	v_mov_b32_dpp v29, v28 row_shr:8 row_mask:0xf bank_mask:0xf
	v_add_f32_e32 v29, v28, v29
	v_cndmask_b32_e64 v28, v28, v29, s[52:53]
	v_cmp_eq_u32_e64 s[52:53], 0, v33
	s_nop 0
	v_mov_b32_dpp v29, v28 row_bcast:15 row_mask:0xf bank_mask:0xf
	v_add_f32_e32 v29, v28, v29
	v_cndmask_b32_e64 v28, v29, v28, s[52:53]
	v_cmp_lt_u32_e64 s[52:53], 15, v32
	s_or_b64 s[50:51], s[52:53], s[50:51]
	v_mov_b32_dpp v29, v28 row_bcast:31 row_mask:0xf bank_mask:0xf
	v_add_f32_e32 v29, v28, v29
	v_cndmask_b32_e64 v28, v28, v29, s[54:55]
	v_cndmask_b32_e64 v27, v27, v28, s[50:51]
	v_add_u32_e32 v28, -1, v32
	v_and_b32_e32 v29, 64, v32
	v_cmp_lt_i32_e64 s[50:51], v28, v29
	s_nop 1
	v_cndmask_b32_e64 v28, v28, v32, s[50:51]
	v_lshlrev_b32_e32 v28, 2, v28
	ds_bpermute_b32 v27, v28, v27
	v_cmp_eq_u32_e64 s[50:51], 0, v0
	s_waitcnt lgkmcnt(0)
	v_add_f32_e32 v26, v26, v27
	v_cndmask_b32_e64 v5, v26, v5, s[50:51]
	ds_write_b32 v31, v5
	; wave barrier
	ds_read2_b32 v[26:27], v31 offset0:1 offset1:2
	ds_read_b32 v28, v31 offset:12
	s_waitcnt lgkmcnt(1)
	v_add_f32_e32 v5, v5, v26
	v_add_f32_e32 v26, v5, v27
	ds_write2_b32 v31, v5, v26 offset0:1 offset1:2
	s_waitcnt lgkmcnt(1)
	v_add_f32_e32 v5, v26, v28
	ds_write_b32 v31, v5 offset:12
.LBB39_50:
	s_or_b64 exec, exec, s[56:57]
	s_load_dwordx2 s[50:51], s[0:1], 0x18
	v_cmp_ne_u32_e64 s[0:1], 0, v0
	v_mov_b32_e32 v26, s58
	s_waitcnt lgkmcnt(0)
	s_barrier
	s_and_saveexec_b64 s[52:53], s[0:1]
	s_cbranch_execz .LBB39_52
; %bb.51:
	v_add_u32_e32 v5, -1, v0
	v_lshrrev_b32_e32 v26, 5, v5
	v_add_lshl_u32 v5, v26, v5, 2
	ds_read_b32 v5, v5
	s_waitcnt lgkmcnt(0)
	v_add_f32_e32 v26, s58, v5
.LBB39_52:
	s_or_b64 exec, exec, s[52:53]
	v_add_f32_e32 v27, v22, v26
	v_add_f32_e32 v28, v23, v27
	;; [unrolled: 1-line block ×22, first 2 shown]
	s_movk_i32 s0, 0xffa4
	v_add_f32_e32 v9, v4, v8
	v_mad_i32_i24 v0, v0, s0, v1
	s_barrier
	ds_write_b128 v1, v[26:29]
	ds_write_b128 v1, v[22:25] offset:16
	ds_write_b128 v1, v[18:21] offset:32
	;; [unrolled: 1-line block ×5, first 2 shown]
	s_waitcnt lgkmcnt(0)
	s_barrier
	ds_read2st64_b32 v[22:23], v0 offset0:4 offset1:8
	ds_read2st64_b32 v[20:21], v0 offset0:12 offset1:20
	;; [unrolled: 1-line block ×10, first 2 shown]
	ds_read_b32 v24, v30 offset:20480
	ds_read2st64_b32 v[0:1], v0 offset0:88 offset1:92
	v_mov_b32_e32 v31, 0
	v_lshl_add_u64 v[2:3], s[50:51], 0, v[30:31]
	s_and_saveexec_b64 s[0:1], vcc
	s_cbranch_execnz .LBB39_77
; %bb.53:
	s_or_b64 exec, exec, s[0:1]
	s_and_saveexec_b64 s[0:1], s[48:49]
	s_cbranch_execnz .LBB39_78
.LBB39_54:
	s_or_b64 exec, exec, s[0:1]
	s_and_saveexec_b64 s[0:1], s[2:3]
	s_cbranch_execnz .LBB39_79
.LBB39_55:
	s_or_b64 exec, exec, s[0:1]
	s_and_saveexec_b64 s[0:1], s[4:5]
	s_cbranch_execnz .LBB39_80
.LBB39_56:
	s_or_b64 exec, exec, s[0:1]
	s_and_saveexec_b64 s[0:1], s[6:7]
	s_cbranch_execnz .LBB39_81
.LBB39_57:
	s_or_b64 exec, exec, s[0:1]
	s_and_saveexec_b64 s[0:1], s[8:9]
	s_cbranch_execnz .LBB39_82
.LBB39_58:
	s_or_b64 exec, exec, s[0:1]
	s_and_saveexec_b64 s[0:1], s[10:11]
	s_cbranch_execnz .LBB39_83
.LBB39_59:
	s_or_b64 exec, exec, s[0:1]
	s_and_saveexec_b64 s[0:1], s[12:13]
	s_cbranch_execnz .LBB39_84
.LBB39_60:
	s_or_b64 exec, exec, s[0:1]
	s_and_saveexec_b64 s[0:1], s[14:15]
	s_cbranch_execnz .LBB39_85
.LBB39_61:
	s_or_b64 exec, exec, s[0:1]
	s_and_saveexec_b64 s[0:1], s[16:17]
	s_cbranch_execnz .LBB39_86
.LBB39_62:
	s_or_b64 exec, exec, s[0:1]
	s_and_saveexec_b64 s[0:1], s[18:19]
	s_cbranch_execnz .LBB39_87
.LBB39_63:
	s_or_b64 exec, exec, s[0:1]
	s_and_saveexec_b64 s[0:1], s[20:21]
	s_cbranch_execnz .LBB39_88
.LBB39_64:
	s_or_b64 exec, exec, s[0:1]
	s_and_saveexec_b64 s[0:1], s[22:23]
	s_cbranch_execnz .LBB39_89
.LBB39_65:
	s_or_b64 exec, exec, s[0:1]
	s_and_saveexec_b64 s[0:1], s[24:25]
	s_cbranch_execnz .LBB39_90
.LBB39_66:
	s_or_b64 exec, exec, s[0:1]
	s_and_saveexec_b64 s[0:1], s[26:27]
	s_cbranch_execnz .LBB39_91
.LBB39_67:
	s_or_b64 exec, exec, s[0:1]
	s_and_saveexec_b64 s[0:1], s[28:29]
	s_cbranch_execnz .LBB39_92
.LBB39_68:
	s_or_b64 exec, exec, s[0:1]
	s_and_saveexec_b64 s[0:1], s[30:31]
	s_cbranch_execnz .LBB39_93
.LBB39_69:
	s_or_b64 exec, exec, s[0:1]
	s_and_saveexec_b64 s[0:1], s[34:35]
	s_cbranch_execnz .LBB39_94
.LBB39_70:
	s_or_b64 exec, exec, s[0:1]
	s_and_saveexec_b64 s[0:1], s[36:37]
	s_cbranch_execnz .LBB39_95
.LBB39_71:
	s_or_b64 exec, exec, s[0:1]
	s_and_saveexec_b64 s[0:1], s[38:39]
	s_cbranch_execnz .LBB39_96
.LBB39_72:
	s_or_b64 exec, exec, s[0:1]
	s_and_saveexec_b64 s[0:1], s[40:41]
	s_cbranch_execnz .LBB39_97
.LBB39_73:
	s_or_b64 exec, exec, s[0:1]
	s_and_saveexec_b64 s[0:1], s[42:43]
	s_cbranch_execnz .LBB39_98
.LBB39_74:
	s_or_b64 exec, exec, s[0:1]
	s_and_saveexec_b64 s[0:1], s[44:45]
	s_cbranch_execnz .LBB39_99
.LBB39_75:
	s_or_b64 exec, exec, s[0:1]
	s_and_saveexec_b64 s[0:1], s[46:47]
	s_cbranch_execnz .LBB39_100
.LBB39_76:
	s_endpgm
.LBB39_77:
	ds_read_b32 v25, v30
	s_waitcnt lgkmcnt(0)
	global_store_dword v[2:3], v25, off
	s_or_b64 exec, exec, s[0:1]
	s_and_saveexec_b64 s[0:1], s[48:49]
	s_cbranch_execz .LBB39_54
.LBB39_78:
	s_waitcnt lgkmcnt(11)
	global_store_dword v[2:3], v22, off offset:1024
	s_or_b64 exec, exec, s[0:1]
	s_and_saveexec_b64 s[0:1], s[2:3]
	s_cbranch_execz .LBB39_55
.LBB39_79:
	s_waitcnt lgkmcnt(11)
	global_store_dword v[2:3], v23, off offset:2048
	s_or_b64 exec, exec, s[0:1]
	s_and_saveexec_b64 s[0:1], s[4:5]
	s_cbranch_execz .LBB39_56
.LBB39_80:
	s_waitcnt lgkmcnt(10)
	global_store_dword v[2:3], v20, off offset:3072
	s_or_b64 exec, exec, s[0:1]
	s_and_saveexec_b64 s[0:1], s[6:7]
	s_cbranch_execz .LBB39_57
.LBB39_81:
	s_waitcnt lgkmcnt(11)
	v_add_co_u32_e32 v22, vcc, 0x1000, v2
	s_nop 1
	v_addc_co_u32_e32 v23, vcc, 0, v3, vcc
	s_waitcnt lgkmcnt(9)
	global_store_dword v[22:23], v16, off
	s_or_b64 exec, exec, s[0:1]
	s_and_saveexec_b64 s[0:1], s[8:9]
	s_cbranch_execz .LBB39_58
.LBB39_82:
	s_waitcnt lgkmcnt(11)
	v_add_co_u32_e32 v22, vcc, 0x1000, v2
	s_nop 1
	v_addc_co_u32_e32 v23, vcc, 0, v3, vcc
	s_waitcnt lgkmcnt(10)
	global_store_dword v[22:23], v21, off offset:1024
	s_or_b64 exec, exec, s[0:1]
	s_and_saveexec_b64 s[0:1], s[10:11]
	s_cbranch_execz .LBB39_59
.LBB39_83:
	s_waitcnt lgkmcnt(10)
	v_add_co_u32_e32 v20, vcc, 0x1000, v2
	s_nop 1
	v_addc_co_u32_e32 v21, vcc, 0, v3, vcc
	s_waitcnt lgkmcnt(8)
	global_store_dword v[20:21], v18, off offset:2048
	s_or_b64 exec, exec, s[0:1]
	s_and_saveexec_b64 s[0:1], s[12:13]
	s_cbranch_execz .LBB39_60
.LBB39_84:
	s_waitcnt lgkmcnt(10)
	v_add_co_u32_e32 v20, vcc, 0x1000, v2
	s_nop 1
	v_addc_co_u32_e32 v21, vcc, 0, v3, vcc
	s_waitcnt lgkmcnt(8)
	global_store_dword v[20:21], v19, off offset:3072
	s_or_b64 exec, exec, s[0:1]
	s_and_saveexec_b64 s[0:1], s[14:15]
	s_cbranch_execz .LBB39_61
.LBB39_85:
	s_waitcnt lgkmcnt(8)
	v_add_co_u32_e32 v18, vcc, 0x2000, v2
	s_nop 1
	v_addc_co_u32_e32 v19, vcc, 0, v3, vcc
	global_store_dword v[18:19], v17, off
	s_or_b64 exec, exec, s[0:1]
	s_and_saveexec_b64 s[0:1], s[16:17]
	s_cbranch_execz .LBB39_62
.LBB39_86:
	s_waitcnt lgkmcnt(9)
	v_add_co_u32_e32 v16, vcc, 0x2000, v2
	s_nop 1
	v_addc_co_u32_e32 v17, vcc, 0, v3, vcc
	s_waitcnt lgkmcnt(7)
	global_store_dword v[16:17], v14, off offset:1024
	s_or_b64 exec, exec, s[0:1]
	s_and_saveexec_b64 s[0:1], s[18:19]
	s_cbranch_execz .LBB39_63
.LBB39_87:
	s_waitcnt lgkmcnt(9)
	v_add_co_u32_e32 v16, vcc, 0x2000, v2
	s_nop 1
	v_addc_co_u32_e32 v17, vcc, 0, v3, vcc
	s_waitcnt lgkmcnt(7)
	global_store_dword v[16:17], v15, off offset:2048
	s_or_b64 exec, exec, s[0:1]
	s_and_saveexec_b64 s[0:1], s[20:21]
	s_cbranch_execz .LBB39_64
.LBB39_88:
	s_waitcnt lgkmcnt(7)
	v_add_co_u32_e32 v14, vcc, 0x2000, v2
	s_nop 1
	v_addc_co_u32_e32 v15, vcc, 0, v3, vcc
	s_waitcnt lgkmcnt(6)
	global_store_dword v[14:15], v12, off offset:3072
	s_or_b64 exec, exec, s[0:1]
	s_and_saveexec_b64 s[0:1], s[22:23]
	s_cbranch_execz .LBB39_65
.LBB39_89:
	s_waitcnt lgkmcnt(7)
	v_add_co_u32_e32 v14, vcc, 0x3000, v2
	s_nop 1
	v_addc_co_u32_e32 v15, vcc, 0, v3, vcc
	s_waitcnt lgkmcnt(5)
	global_store_dword v[14:15], v8, off
	s_or_b64 exec, exec, s[0:1]
	s_and_saveexec_b64 s[0:1], s[24:25]
	s_cbranch_execz .LBB39_66
.LBB39_90:
	s_waitcnt lgkmcnt(7)
	v_add_co_u32_e32 v14, vcc, 0x3000, v2
	s_nop 1
	v_addc_co_u32_e32 v15, vcc, 0, v3, vcc
	s_waitcnt lgkmcnt(6)
	global_store_dword v[14:15], v13, off offset:1024
	s_or_b64 exec, exec, s[0:1]
	s_and_saveexec_b64 s[0:1], s[26:27]
	s_cbranch_execz .LBB39_67
.LBB39_91:
	s_waitcnt lgkmcnt(6)
	v_add_co_u32_e32 v12, vcc, 0x3000, v2
	s_nop 1
	v_addc_co_u32_e32 v13, vcc, 0, v3, vcc
	s_waitcnt lgkmcnt(4)
	global_store_dword v[12:13], v10, off offset:2048
	s_or_b64 exec, exec, s[0:1]
	s_and_saveexec_b64 s[0:1], s[28:29]
	s_cbranch_execz .LBB39_68
.LBB39_92:
	s_waitcnt lgkmcnt(6)
	v_add_co_u32_e32 v12, vcc, 0x3000, v2
	s_nop 1
	v_addc_co_u32_e32 v13, vcc, 0, v3, vcc
	s_waitcnt lgkmcnt(4)
	global_store_dword v[12:13], v11, off offset:3072
	s_or_b64 exec, exec, s[0:1]
	s_and_saveexec_b64 s[0:1], s[30:31]
	s_cbranch_execz .LBB39_69
.LBB39_93:
	s_waitcnt lgkmcnt(4)
	v_add_co_u32_e32 v10, vcc, 0x4000, v2
	s_nop 1
	v_addc_co_u32_e32 v11, vcc, 0, v3, vcc
	global_store_dword v[10:11], v9, off
	s_or_b64 exec, exec, s[0:1]
	s_and_saveexec_b64 s[0:1], s[34:35]
	s_cbranch_execz .LBB39_70
.LBB39_94:
	s_waitcnt lgkmcnt(5)
	v_add_co_u32_e32 v8, vcc, 0x4000, v2
	s_nop 1
	v_addc_co_u32_e32 v9, vcc, 0, v3, vcc
	s_waitcnt lgkmcnt(3)
	global_store_dword v[8:9], v6, off offset:1024
	s_or_b64 exec, exec, s[0:1]
	s_and_saveexec_b64 s[0:1], s[36:37]
	s_cbranch_execz .LBB39_71
.LBB39_95:
	s_waitcnt lgkmcnt(5)
	v_add_co_u32_e32 v8, vcc, 0x4000, v2
	s_nop 1
	v_addc_co_u32_e32 v9, vcc, 0, v3, vcc
	s_waitcnt lgkmcnt(3)
	global_store_dword v[8:9], v7, off offset:2048
	s_or_b64 exec, exec, s[0:1]
	s_and_saveexec_b64 s[0:1], s[38:39]
	s_cbranch_execz .LBB39_72
.LBB39_96:
	s_waitcnt lgkmcnt(3)
	v_add_co_u32_e32 v6, vcc, 0x4000, v2
	s_nop 1
	v_addc_co_u32_e32 v7, vcc, 0, v3, vcc
	s_waitcnt lgkmcnt(2)
	global_store_dword v[6:7], v4, off offset:3072
	s_or_b64 exec, exec, s[0:1]
	s_and_saveexec_b64 s[0:1], s[40:41]
	s_cbranch_execz .LBB39_73
.LBB39_97:
	s_waitcnt lgkmcnt(3)
	v_add_co_u32_e32 v6, vcc, 0x5000, v2
	s_nop 1
	v_addc_co_u32_e32 v7, vcc, 0, v3, vcc
	s_waitcnt lgkmcnt(1)
	global_store_dword v[6:7], v24, off
	s_or_b64 exec, exec, s[0:1]
	s_and_saveexec_b64 s[0:1], s[42:43]
	s_cbranch_execz .LBB39_74
.LBB39_98:
	s_waitcnt lgkmcnt(3)
	v_add_co_u32_e32 v6, vcc, 0x5000, v2
	s_nop 1
	v_addc_co_u32_e32 v7, vcc, 0, v3, vcc
	s_waitcnt lgkmcnt(2)
	global_store_dword v[6:7], v5, off offset:1024
	s_or_b64 exec, exec, s[0:1]
	s_and_saveexec_b64 s[0:1], s[44:45]
	s_cbranch_execz .LBB39_75
.LBB39_99:
	s_waitcnt lgkmcnt(2)
	v_add_co_u32_e32 v4, vcc, 0x5000, v2
	s_nop 1
	v_addc_co_u32_e32 v5, vcc, 0, v3, vcc
	s_waitcnt lgkmcnt(0)
	global_store_dword v[4:5], v0, off offset:2048
	s_or_b64 exec, exec, s[0:1]
	s_and_saveexec_b64 s[0:1], s[46:47]
	s_cbranch_execz .LBB39_76
.LBB39_100:
	v_add_co_u32_e32 v2, vcc, 0x5000, v2
	s_nop 1
	v_addc_co_u32_e32 v3, vcc, 0, v3, vcc
	s_waitcnt lgkmcnt(0)
	global_store_dword v[2:3], v1, off offset:3072
	s_endpgm
	.section	.rodata,"a",@progbits
	.p2align	6, 0x0
	.amdhsa_kernel _ZN7rocprim17ROCPRIM_400000_NS6detail17trampoline_kernelINS0_14default_configENS1_20scan_config_selectorIfEEZZNS1_9scan_implILNS1_25lookback_scan_determinismE0ELb1ELb1ES3_N6thrust23THRUST_200600_302600_NS6detail15normal_iteratorINS9_10device_ptrIKfEEEENSB_INSC_IfEEEEfNS9_4plusIvEEfEEDaPvRmT3_T4_T5_mT6_P12ihipStream_tbENKUlT_T0_E_clISt17integral_constantIbLb1EESX_EEDaSS_ST_EUlSS_E0_NS1_11comp_targetILNS1_3genE5ELNS1_11target_archE942ELNS1_3gpuE9ELNS1_3repE0EEENS1_30default_config_static_selectorELNS0_4arch9wavefront6targetE1EEEvT1_
		.amdhsa_group_segment_fixed_size 24576
		.amdhsa_private_segment_fixed_size 0
		.amdhsa_kernarg_size 32
		.amdhsa_user_sgpr_count 2
		.amdhsa_user_sgpr_dispatch_ptr 0
		.amdhsa_user_sgpr_queue_ptr 0
		.amdhsa_user_sgpr_kernarg_segment_ptr 1
		.amdhsa_user_sgpr_dispatch_id 0
		.amdhsa_user_sgpr_kernarg_preload_length 0
		.amdhsa_user_sgpr_kernarg_preload_offset 0
		.amdhsa_user_sgpr_private_segment_size 0
		.amdhsa_uses_dynamic_stack 0
		.amdhsa_enable_private_segment 0
		.amdhsa_system_sgpr_workgroup_id_x 1
		.amdhsa_system_sgpr_workgroup_id_y 0
		.amdhsa_system_sgpr_workgroup_id_z 0
		.amdhsa_system_sgpr_workgroup_info 0
		.amdhsa_system_vgpr_workitem_id 0
		.amdhsa_next_free_vgpr 34
		.amdhsa_next_free_sgpr 59
		.amdhsa_accum_offset 36
		.amdhsa_reserve_vcc 1
		.amdhsa_float_round_mode_32 0
		.amdhsa_float_round_mode_16_64 0
		.amdhsa_float_denorm_mode_32 3
		.amdhsa_float_denorm_mode_16_64 3
		.amdhsa_dx10_clamp 1
		.amdhsa_ieee_mode 1
		.amdhsa_fp16_overflow 0
		.amdhsa_tg_split 0
		.amdhsa_exception_fp_ieee_invalid_op 0
		.amdhsa_exception_fp_denorm_src 0
		.amdhsa_exception_fp_ieee_div_zero 0
		.amdhsa_exception_fp_ieee_overflow 0
		.amdhsa_exception_fp_ieee_underflow 0
		.amdhsa_exception_fp_ieee_inexact 0
		.amdhsa_exception_int_div_zero 0
	.end_amdhsa_kernel
	.section	.text._ZN7rocprim17ROCPRIM_400000_NS6detail17trampoline_kernelINS0_14default_configENS1_20scan_config_selectorIfEEZZNS1_9scan_implILNS1_25lookback_scan_determinismE0ELb1ELb1ES3_N6thrust23THRUST_200600_302600_NS6detail15normal_iteratorINS9_10device_ptrIKfEEEENSB_INSC_IfEEEEfNS9_4plusIvEEfEEDaPvRmT3_T4_T5_mT6_P12ihipStream_tbENKUlT_T0_E_clISt17integral_constantIbLb1EESX_EEDaSS_ST_EUlSS_E0_NS1_11comp_targetILNS1_3genE5ELNS1_11target_archE942ELNS1_3gpuE9ELNS1_3repE0EEENS1_30default_config_static_selectorELNS0_4arch9wavefront6targetE1EEEvT1_,"axG",@progbits,_ZN7rocprim17ROCPRIM_400000_NS6detail17trampoline_kernelINS0_14default_configENS1_20scan_config_selectorIfEEZZNS1_9scan_implILNS1_25lookback_scan_determinismE0ELb1ELb1ES3_N6thrust23THRUST_200600_302600_NS6detail15normal_iteratorINS9_10device_ptrIKfEEEENSB_INSC_IfEEEEfNS9_4plusIvEEfEEDaPvRmT3_T4_T5_mT6_P12ihipStream_tbENKUlT_T0_E_clISt17integral_constantIbLb1EESX_EEDaSS_ST_EUlSS_E0_NS1_11comp_targetILNS1_3genE5ELNS1_11target_archE942ELNS1_3gpuE9ELNS1_3repE0EEENS1_30default_config_static_selectorELNS0_4arch9wavefront6targetE1EEEvT1_,comdat
.Lfunc_end39:
	.size	_ZN7rocprim17ROCPRIM_400000_NS6detail17trampoline_kernelINS0_14default_configENS1_20scan_config_selectorIfEEZZNS1_9scan_implILNS1_25lookback_scan_determinismE0ELb1ELb1ES3_N6thrust23THRUST_200600_302600_NS6detail15normal_iteratorINS9_10device_ptrIKfEEEENSB_INSC_IfEEEEfNS9_4plusIvEEfEEDaPvRmT3_T4_T5_mT6_P12ihipStream_tbENKUlT_T0_E_clISt17integral_constantIbLb1EESX_EEDaSS_ST_EUlSS_E0_NS1_11comp_targetILNS1_3genE5ELNS1_11target_archE942ELNS1_3gpuE9ELNS1_3repE0EEENS1_30default_config_static_selectorELNS0_4arch9wavefront6targetE1EEEvT1_, .Lfunc_end39-_ZN7rocprim17ROCPRIM_400000_NS6detail17trampoline_kernelINS0_14default_configENS1_20scan_config_selectorIfEEZZNS1_9scan_implILNS1_25lookback_scan_determinismE0ELb1ELb1ES3_N6thrust23THRUST_200600_302600_NS6detail15normal_iteratorINS9_10device_ptrIKfEEEENSB_INSC_IfEEEEfNS9_4plusIvEEfEEDaPvRmT3_T4_T5_mT6_P12ihipStream_tbENKUlT_T0_E_clISt17integral_constantIbLb1EESX_EEDaSS_ST_EUlSS_E0_NS1_11comp_targetILNS1_3genE5ELNS1_11target_archE942ELNS1_3gpuE9ELNS1_3repE0EEENS1_30default_config_static_selectorELNS0_4arch9wavefront6targetE1EEEvT1_
                                        ; -- End function
	.section	.AMDGPU.csdata,"",@progbits
; Kernel info:
; codeLenInByte = 3384
; NumSgprs: 65
; NumVgprs: 34
; NumAgprs: 0
; TotalNumVgprs: 34
; ScratchSize: 0
; MemoryBound: 0
; FloatMode: 240
; IeeeMode: 1
; LDSByteSize: 24576 bytes/workgroup (compile time only)
; SGPRBlocks: 8
; VGPRBlocks: 4
; NumSGPRsForWavesPerEU: 65
; NumVGPRsForWavesPerEU: 34
; AccumOffset: 36
; Occupancy: 2
; WaveLimiterHint : 0
; COMPUTE_PGM_RSRC2:SCRATCH_EN: 0
; COMPUTE_PGM_RSRC2:USER_SGPR: 2
; COMPUTE_PGM_RSRC2:TRAP_HANDLER: 0
; COMPUTE_PGM_RSRC2:TGID_X_EN: 1
; COMPUTE_PGM_RSRC2:TGID_Y_EN: 0
; COMPUTE_PGM_RSRC2:TGID_Z_EN: 0
; COMPUTE_PGM_RSRC2:TIDIG_COMP_CNT: 0
; COMPUTE_PGM_RSRC3_GFX90A:ACCUM_OFFSET: 8
; COMPUTE_PGM_RSRC3_GFX90A:TG_SPLIT: 0
	.section	.text._ZN7rocprim17ROCPRIM_400000_NS6detail17trampoline_kernelINS0_14default_configENS1_20scan_config_selectorIfEEZZNS1_9scan_implILNS1_25lookback_scan_determinismE0ELb1ELb1ES3_N6thrust23THRUST_200600_302600_NS6detail15normal_iteratorINS9_10device_ptrIKfEEEENSB_INSC_IfEEEEfNS9_4plusIvEEfEEDaPvRmT3_T4_T5_mT6_P12ihipStream_tbENKUlT_T0_E_clISt17integral_constantIbLb1EESX_EEDaSS_ST_EUlSS_E0_NS1_11comp_targetILNS1_3genE4ELNS1_11target_archE910ELNS1_3gpuE8ELNS1_3repE0EEENS1_30default_config_static_selectorELNS0_4arch9wavefront6targetE1EEEvT1_,"axG",@progbits,_ZN7rocprim17ROCPRIM_400000_NS6detail17trampoline_kernelINS0_14default_configENS1_20scan_config_selectorIfEEZZNS1_9scan_implILNS1_25lookback_scan_determinismE0ELb1ELb1ES3_N6thrust23THRUST_200600_302600_NS6detail15normal_iteratorINS9_10device_ptrIKfEEEENSB_INSC_IfEEEEfNS9_4plusIvEEfEEDaPvRmT3_T4_T5_mT6_P12ihipStream_tbENKUlT_T0_E_clISt17integral_constantIbLb1EESX_EEDaSS_ST_EUlSS_E0_NS1_11comp_targetILNS1_3genE4ELNS1_11target_archE910ELNS1_3gpuE8ELNS1_3repE0EEENS1_30default_config_static_selectorELNS0_4arch9wavefront6targetE1EEEvT1_,comdat
	.protected	_ZN7rocprim17ROCPRIM_400000_NS6detail17trampoline_kernelINS0_14default_configENS1_20scan_config_selectorIfEEZZNS1_9scan_implILNS1_25lookback_scan_determinismE0ELb1ELb1ES3_N6thrust23THRUST_200600_302600_NS6detail15normal_iteratorINS9_10device_ptrIKfEEEENSB_INSC_IfEEEEfNS9_4plusIvEEfEEDaPvRmT3_T4_T5_mT6_P12ihipStream_tbENKUlT_T0_E_clISt17integral_constantIbLb1EESX_EEDaSS_ST_EUlSS_E0_NS1_11comp_targetILNS1_3genE4ELNS1_11target_archE910ELNS1_3gpuE8ELNS1_3repE0EEENS1_30default_config_static_selectorELNS0_4arch9wavefront6targetE1EEEvT1_ ; -- Begin function _ZN7rocprim17ROCPRIM_400000_NS6detail17trampoline_kernelINS0_14default_configENS1_20scan_config_selectorIfEEZZNS1_9scan_implILNS1_25lookback_scan_determinismE0ELb1ELb1ES3_N6thrust23THRUST_200600_302600_NS6detail15normal_iteratorINS9_10device_ptrIKfEEEENSB_INSC_IfEEEEfNS9_4plusIvEEfEEDaPvRmT3_T4_T5_mT6_P12ihipStream_tbENKUlT_T0_E_clISt17integral_constantIbLb1EESX_EEDaSS_ST_EUlSS_E0_NS1_11comp_targetILNS1_3genE4ELNS1_11target_archE910ELNS1_3gpuE8ELNS1_3repE0EEENS1_30default_config_static_selectorELNS0_4arch9wavefront6targetE1EEEvT1_
	.globl	_ZN7rocprim17ROCPRIM_400000_NS6detail17trampoline_kernelINS0_14default_configENS1_20scan_config_selectorIfEEZZNS1_9scan_implILNS1_25lookback_scan_determinismE0ELb1ELb1ES3_N6thrust23THRUST_200600_302600_NS6detail15normal_iteratorINS9_10device_ptrIKfEEEENSB_INSC_IfEEEEfNS9_4plusIvEEfEEDaPvRmT3_T4_T5_mT6_P12ihipStream_tbENKUlT_T0_E_clISt17integral_constantIbLb1EESX_EEDaSS_ST_EUlSS_E0_NS1_11comp_targetILNS1_3genE4ELNS1_11target_archE910ELNS1_3gpuE8ELNS1_3repE0EEENS1_30default_config_static_selectorELNS0_4arch9wavefront6targetE1EEEvT1_
	.p2align	8
	.type	_ZN7rocprim17ROCPRIM_400000_NS6detail17trampoline_kernelINS0_14default_configENS1_20scan_config_selectorIfEEZZNS1_9scan_implILNS1_25lookback_scan_determinismE0ELb1ELb1ES3_N6thrust23THRUST_200600_302600_NS6detail15normal_iteratorINS9_10device_ptrIKfEEEENSB_INSC_IfEEEEfNS9_4plusIvEEfEEDaPvRmT3_T4_T5_mT6_P12ihipStream_tbENKUlT_T0_E_clISt17integral_constantIbLb1EESX_EEDaSS_ST_EUlSS_E0_NS1_11comp_targetILNS1_3genE4ELNS1_11target_archE910ELNS1_3gpuE8ELNS1_3repE0EEENS1_30default_config_static_selectorELNS0_4arch9wavefront6targetE1EEEvT1_,@function
_ZN7rocprim17ROCPRIM_400000_NS6detail17trampoline_kernelINS0_14default_configENS1_20scan_config_selectorIfEEZZNS1_9scan_implILNS1_25lookback_scan_determinismE0ELb1ELb1ES3_N6thrust23THRUST_200600_302600_NS6detail15normal_iteratorINS9_10device_ptrIKfEEEENSB_INSC_IfEEEEfNS9_4plusIvEEfEEDaPvRmT3_T4_T5_mT6_P12ihipStream_tbENKUlT_T0_E_clISt17integral_constantIbLb1EESX_EEDaSS_ST_EUlSS_E0_NS1_11comp_targetILNS1_3genE4ELNS1_11target_archE910ELNS1_3gpuE8ELNS1_3repE0EEENS1_30default_config_static_selectorELNS0_4arch9wavefront6targetE1EEEvT1_: ; @_ZN7rocprim17ROCPRIM_400000_NS6detail17trampoline_kernelINS0_14default_configENS1_20scan_config_selectorIfEEZZNS1_9scan_implILNS1_25lookback_scan_determinismE0ELb1ELb1ES3_N6thrust23THRUST_200600_302600_NS6detail15normal_iteratorINS9_10device_ptrIKfEEEENSB_INSC_IfEEEEfNS9_4plusIvEEfEEDaPvRmT3_T4_T5_mT6_P12ihipStream_tbENKUlT_T0_E_clISt17integral_constantIbLb1EESX_EEDaSS_ST_EUlSS_E0_NS1_11comp_targetILNS1_3genE4ELNS1_11target_archE910ELNS1_3gpuE8ELNS1_3repE0EEENS1_30default_config_static_selectorELNS0_4arch9wavefront6targetE1EEEvT1_
; %bb.0:
	.section	.rodata,"a",@progbits
	.p2align	6, 0x0
	.amdhsa_kernel _ZN7rocprim17ROCPRIM_400000_NS6detail17trampoline_kernelINS0_14default_configENS1_20scan_config_selectorIfEEZZNS1_9scan_implILNS1_25lookback_scan_determinismE0ELb1ELb1ES3_N6thrust23THRUST_200600_302600_NS6detail15normal_iteratorINS9_10device_ptrIKfEEEENSB_INSC_IfEEEEfNS9_4plusIvEEfEEDaPvRmT3_T4_T5_mT6_P12ihipStream_tbENKUlT_T0_E_clISt17integral_constantIbLb1EESX_EEDaSS_ST_EUlSS_E0_NS1_11comp_targetILNS1_3genE4ELNS1_11target_archE910ELNS1_3gpuE8ELNS1_3repE0EEENS1_30default_config_static_selectorELNS0_4arch9wavefront6targetE1EEEvT1_
		.amdhsa_group_segment_fixed_size 0
		.amdhsa_private_segment_fixed_size 0
		.amdhsa_kernarg_size 32
		.amdhsa_user_sgpr_count 2
		.amdhsa_user_sgpr_dispatch_ptr 0
		.amdhsa_user_sgpr_queue_ptr 0
		.amdhsa_user_sgpr_kernarg_segment_ptr 1
		.amdhsa_user_sgpr_dispatch_id 0
		.amdhsa_user_sgpr_kernarg_preload_length 0
		.amdhsa_user_sgpr_kernarg_preload_offset 0
		.amdhsa_user_sgpr_private_segment_size 0
		.amdhsa_uses_dynamic_stack 0
		.amdhsa_enable_private_segment 0
		.amdhsa_system_sgpr_workgroup_id_x 1
		.amdhsa_system_sgpr_workgroup_id_y 0
		.amdhsa_system_sgpr_workgroup_id_z 0
		.amdhsa_system_sgpr_workgroup_info 0
		.amdhsa_system_vgpr_workitem_id 0
		.amdhsa_next_free_vgpr 1
		.amdhsa_next_free_sgpr 0
		.amdhsa_accum_offset 4
		.amdhsa_reserve_vcc 0
		.amdhsa_float_round_mode_32 0
		.amdhsa_float_round_mode_16_64 0
		.amdhsa_float_denorm_mode_32 3
		.amdhsa_float_denorm_mode_16_64 3
		.amdhsa_dx10_clamp 1
		.amdhsa_ieee_mode 1
		.amdhsa_fp16_overflow 0
		.amdhsa_tg_split 0
		.amdhsa_exception_fp_ieee_invalid_op 0
		.amdhsa_exception_fp_denorm_src 0
		.amdhsa_exception_fp_ieee_div_zero 0
		.amdhsa_exception_fp_ieee_overflow 0
		.amdhsa_exception_fp_ieee_underflow 0
		.amdhsa_exception_fp_ieee_inexact 0
		.amdhsa_exception_int_div_zero 0
	.end_amdhsa_kernel
	.section	.text._ZN7rocprim17ROCPRIM_400000_NS6detail17trampoline_kernelINS0_14default_configENS1_20scan_config_selectorIfEEZZNS1_9scan_implILNS1_25lookback_scan_determinismE0ELb1ELb1ES3_N6thrust23THRUST_200600_302600_NS6detail15normal_iteratorINS9_10device_ptrIKfEEEENSB_INSC_IfEEEEfNS9_4plusIvEEfEEDaPvRmT3_T4_T5_mT6_P12ihipStream_tbENKUlT_T0_E_clISt17integral_constantIbLb1EESX_EEDaSS_ST_EUlSS_E0_NS1_11comp_targetILNS1_3genE4ELNS1_11target_archE910ELNS1_3gpuE8ELNS1_3repE0EEENS1_30default_config_static_selectorELNS0_4arch9wavefront6targetE1EEEvT1_,"axG",@progbits,_ZN7rocprim17ROCPRIM_400000_NS6detail17trampoline_kernelINS0_14default_configENS1_20scan_config_selectorIfEEZZNS1_9scan_implILNS1_25lookback_scan_determinismE0ELb1ELb1ES3_N6thrust23THRUST_200600_302600_NS6detail15normal_iteratorINS9_10device_ptrIKfEEEENSB_INSC_IfEEEEfNS9_4plusIvEEfEEDaPvRmT3_T4_T5_mT6_P12ihipStream_tbENKUlT_T0_E_clISt17integral_constantIbLb1EESX_EEDaSS_ST_EUlSS_E0_NS1_11comp_targetILNS1_3genE4ELNS1_11target_archE910ELNS1_3gpuE8ELNS1_3repE0EEENS1_30default_config_static_selectorELNS0_4arch9wavefront6targetE1EEEvT1_,comdat
.Lfunc_end40:
	.size	_ZN7rocprim17ROCPRIM_400000_NS6detail17trampoline_kernelINS0_14default_configENS1_20scan_config_selectorIfEEZZNS1_9scan_implILNS1_25lookback_scan_determinismE0ELb1ELb1ES3_N6thrust23THRUST_200600_302600_NS6detail15normal_iteratorINS9_10device_ptrIKfEEEENSB_INSC_IfEEEEfNS9_4plusIvEEfEEDaPvRmT3_T4_T5_mT6_P12ihipStream_tbENKUlT_T0_E_clISt17integral_constantIbLb1EESX_EEDaSS_ST_EUlSS_E0_NS1_11comp_targetILNS1_3genE4ELNS1_11target_archE910ELNS1_3gpuE8ELNS1_3repE0EEENS1_30default_config_static_selectorELNS0_4arch9wavefront6targetE1EEEvT1_, .Lfunc_end40-_ZN7rocprim17ROCPRIM_400000_NS6detail17trampoline_kernelINS0_14default_configENS1_20scan_config_selectorIfEEZZNS1_9scan_implILNS1_25lookback_scan_determinismE0ELb1ELb1ES3_N6thrust23THRUST_200600_302600_NS6detail15normal_iteratorINS9_10device_ptrIKfEEEENSB_INSC_IfEEEEfNS9_4plusIvEEfEEDaPvRmT3_T4_T5_mT6_P12ihipStream_tbENKUlT_T0_E_clISt17integral_constantIbLb1EESX_EEDaSS_ST_EUlSS_E0_NS1_11comp_targetILNS1_3genE4ELNS1_11target_archE910ELNS1_3gpuE8ELNS1_3repE0EEENS1_30default_config_static_selectorELNS0_4arch9wavefront6targetE1EEEvT1_
                                        ; -- End function
	.section	.AMDGPU.csdata,"",@progbits
; Kernel info:
; codeLenInByte = 0
; NumSgprs: 6
; NumVgprs: 0
; NumAgprs: 0
; TotalNumVgprs: 0
; ScratchSize: 0
; MemoryBound: 0
; FloatMode: 240
; IeeeMode: 1
; LDSByteSize: 0 bytes/workgroup (compile time only)
; SGPRBlocks: 0
; VGPRBlocks: 0
; NumSGPRsForWavesPerEU: 6
; NumVGPRsForWavesPerEU: 1
; AccumOffset: 4
; Occupancy: 8
; WaveLimiterHint : 0
; COMPUTE_PGM_RSRC2:SCRATCH_EN: 0
; COMPUTE_PGM_RSRC2:USER_SGPR: 2
; COMPUTE_PGM_RSRC2:TRAP_HANDLER: 0
; COMPUTE_PGM_RSRC2:TGID_X_EN: 1
; COMPUTE_PGM_RSRC2:TGID_Y_EN: 0
; COMPUTE_PGM_RSRC2:TGID_Z_EN: 0
; COMPUTE_PGM_RSRC2:TIDIG_COMP_CNT: 0
; COMPUTE_PGM_RSRC3_GFX90A:ACCUM_OFFSET: 0
; COMPUTE_PGM_RSRC3_GFX90A:TG_SPLIT: 0
	.section	.text._ZN7rocprim17ROCPRIM_400000_NS6detail17trampoline_kernelINS0_14default_configENS1_20scan_config_selectorIfEEZZNS1_9scan_implILNS1_25lookback_scan_determinismE0ELb1ELb1ES3_N6thrust23THRUST_200600_302600_NS6detail15normal_iteratorINS9_10device_ptrIKfEEEENSB_INSC_IfEEEEfNS9_4plusIvEEfEEDaPvRmT3_T4_T5_mT6_P12ihipStream_tbENKUlT_T0_E_clISt17integral_constantIbLb1EESX_EEDaSS_ST_EUlSS_E0_NS1_11comp_targetILNS1_3genE3ELNS1_11target_archE908ELNS1_3gpuE7ELNS1_3repE0EEENS1_30default_config_static_selectorELNS0_4arch9wavefront6targetE1EEEvT1_,"axG",@progbits,_ZN7rocprim17ROCPRIM_400000_NS6detail17trampoline_kernelINS0_14default_configENS1_20scan_config_selectorIfEEZZNS1_9scan_implILNS1_25lookback_scan_determinismE0ELb1ELb1ES3_N6thrust23THRUST_200600_302600_NS6detail15normal_iteratorINS9_10device_ptrIKfEEEENSB_INSC_IfEEEEfNS9_4plusIvEEfEEDaPvRmT3_T4_T5_mT6_P12ihipStream_tbENKUlT_T0_E_clISt17integral_constantIbLb1EESX_EEDaSS_ST_EUlSS_E0_NS1_11comp_targetILNS1_3genE3ELNS1_11target_archE908ELNS1_3gpuE7ELNS1_3repE0EEENS1_30default_config_static_selectorELNS0_4arch9wavefront6targetE1EEEvT1_,comdat
	.protected	_ZN7rocprim17ROCPRIM_400000_NS6detail17trampoline_kernelINS0_14default_configENS1_20scan_config_selectorIfEEZZNS1_9scan_implILNS1_25lookback_scan_determinismE0ELb1ELb1ES3_N6thrust23THRUST_200600_302600_NS6detail15normal_iteratorINS9_10device_ptrIKfEEEENSB_INSC_IfEEEEfNS9_4plusIvEEfEEDaPvRmT3_T4_T5_mT6_P12ihipStream_tbENKUlT_T0_E_clISt17integral_constantIbLb1EESX_EEDaSS_ST_EUlSS_E0_NS1_11comp_targetILNS1_3genE3ELNS1_11target_archE908ELNS1_3gpuE7ELNS1_3repE0EEENS1_30default_config_static_selectorELNS0_4arch9wavefront6targetE1EEEvT1_ ; -- Begin function _ZN7rocprim17ROCPRIM_400000_NS6detail17trampoline_kernelINS0_14default_configENS1_20scan_config_selectorIfEEZZNS1_9scan_implILNS1_25lookback_scan_determinismE0ELb1ELb1ES3_N6thrust23THRUST_200600_302600_NS6detail15normal_iteratorINS9_10device_ptrIKfEEEENSB_INSC_IfEEEEfNS9_4plusIvEEfEEDaPvRmT3_T4_T5_mT6_P12ihipStream_tbENKUlT_T0_E_clISt17integral_constantIbLb1EESX_EEDaSS_ST_EUlSS_E0_NS1_11comp_targetILNS1_3genE3ELNS1_11target_archE908ELNS1_3gpuE7ELNS1_3repE0EEENS1_30default_config_static_selectorELNS0_4arch9wavefront6targetE1EEEvT1_
	.globl	_ZN7rocprim17ROCPRIM_400000_NS6detail17trampoline_kernelINS0_14default_configENS1_20scan_config_selectorIfEEZZNS1_9scan_implILNS1_25lookback_scan_determinismE0ELb1ELb1ES3_N6thrust23THRUST_200600_302600_NS6detail15normal_iteratorINS9_10device_ptrIKfEEEENSB_INSC_IfEEEEfNS9_4plusIvEEfEEDaPvRmT3_T4_T5_mT6_P12ihipStream_tbENKUlT_T0_E_clISt17integral_constantIbLb1EESX_EEDaSS_ST_EUlSS_E0_NS1_11comp_targetILNS1_3genE3ELNS1_11target_archE908ELNS1_3gpuE7ELNS1_3repE0EEENS1_30default_config_static_selectorELNS0_4arch9wavefront6targetE1EEEvT1_
	.p2align	8
	.type	_ZN7rocprim17ROCPRIM_400000_NS6detail17trampoline_kernelINS0_14default_configENS1_20scan_config_selectorIfEEZZNS1_9scan_implILNS1_25lookback_scan_determinismE0ELb1ELb1ES3_N6thrust23THRUST_200600_302600_NS6detail15normal_iteratorINS9_10device_ptrIKfEEEENSB_INSC_IfEEEEfNS9_4plusIvEEfEEDaPvRmT3_T4_T5_mT6_P12ihipStream_tbENKUlT_T0_E_clISt17integral_constantIbLb1EESX_EEDaSS_ST_EUlSS_E0_NS1_11comp_targetILNS1_3genE3ELNS1_11target_archE908ELNS1_3gpuE7ELNS1_3repE0EEENS1_30default_config_static_selectorELNS0_4arch9wavefront6targetE1EEEvT1_,@function
_ZN7rocprim17ROCPRIM_400000_NS6detail17trampoline_kernelINS0_14default_configENS1_20scan_config_selectorIfEEZZNS1_9scan_implILNS1_25lookback_scan_determinismE0ELb1ELb1ES3_N6thrust23THRUST_200600_302600_NS6detail15normal_iteratorINS9_10device_ptrIKfEEEENSB_INSC_IfEEEEfNS9_4plusIvEEfEEDaPvRmT3_T4_T5_mT6_P12ihipStream_tbENKUlT_T0_E_clISt17integral_constantIbLb1EESX_EEDaSS_ST_EUlSS_E0_NS1_11comp_targetILNS1_3genE3ELNS1_11target_archE908ELNS1_3gpuE7ELNS1_3repE0EEENS1_30default_config_static_selectorELNS0_4arch9wavefront6targetE1EEEvT1_: ; @_ZN7rocprim17ROCPRIM_400000_NS6detail17trampoline_kernelINS0_14default_configENS1_20scan_config_selectorIfEEZZNS1_9scan_implILNS1_25lookback_scan_determinismE0ELb1ELb1ES3_N6thrust23THRUST_200600_302600_NS6detail15normal_iteratorINS9_10device_ptrIKfEEEENSB_INSC_IfEEEEfNS9_4plusIvEEfEEDaPvRmT3_T4_T5_mT6_P12ihipStream_tbENKUlT_T0_E_clISt17integral_constantIbLb1EESX_EEDaSS_ST_EUlSS_E0_NS1_11comp_targetILNS1_3genE3ELNS1_11target_archE908ELNS1_3gpuE7ELNS1_3repE0EEENS1_30default_config_static_selectorELNS0_4arch9wavefront6targetE1EEEvT1_
; %bb.0:
	.section	.rodata,"a",@progbits
	.p2align	6, 0x0
	.amdhsa_kernel _ZN7rocprim17ROCPRIM_400000_NS6detail17trampoline_kernelINS0_14default_configENS1_20scan_config_selectorIfEEZZNS1_9scan_implILNS1_25lookback_scan_determinismE0ELb1ELb1ES3_N6thrust23THRUST_200600_302600_NS6detail15normal_iteratorINS9_10device_ptrIKfEEEENSB_INSC_IfEEEEfNS9_4plusIvEEfEEDaPvRmT3_T4_T5_mT6_P12ihipStream_tbENKUlT_T0_E_clISt17integral_constantIbLb1EESX_EEDaSS_ST_EUlSS_E0_NS1_11comp_targetILNS1_3genE3ELNS1_11target_archE908ELNS1_3gpuE7ELNS1_3repE0EEENS1_30default_config_static_selectorELNS0_4arch9wavefront6targetE1EEEvT1_
		.amdhsa_group_segment_fixed_size 0
		.amdhsa_private_segment_fixed_size 0
		.amdhsa_kernarg_size 32
		.amdhsa_user_sgpr_count 2
		.amdhsa_user_sgpr_dispatch_ptr 0
		.amdhsa_user_sgpr_queue_ptr 0
		.amdhsa_user_sgpr_kernarg_segment_ptr 1
		.amdhsa_user_sgpr_dispatch_id 0
		.amdhsa_user_sgpr_kernarg_preload_length 0
		.amdhsa_user_sgpr_kernarg_preload_offset 0
		.amdhsa_user_sgpr_private_segment_size 0
		.amdhsa_uses_dynamic_stack 0
		.amdhsa_enable_private_segment 0
		.amdhsa_system_sgpr_workgroup_id_x 1
		.amdhsa_system_sgpr_workgroup_id_y 0
		.amdhsa_system_sgpr_workgroup_id_z 0
		.amdhsa_system_sgpr_workgroup_info 0
		.amdhsa_system_vgpr_workitem_id 0
		.amdhsa_next_free_vgpr 1
		.amdhsa_next_free_sgpr 0
		.amdhsa_accum_offset 4
		.amdhsa_reserve_vcc 0
		.amdhsa_float_round_mode_32 0
		.amdhsa_float_round_mode_16_64 0
		.amdhsa_float_denorm_mode_32 3
		.amdhsa_float_denorm_mode_16_64 3
		.amdhsa_dx10_clamp 1
		.amdhsa_ieee_mode 1
		.amdhsa_fp16_overflow 0
		.amdhsa_tg_split 0
		.amdhsa_exception_fp_ieee_invalid_op 0
		.amdhsa_exception_fp_denorm_src 0
		.amdhsa_exception_fp_ieee_div_zero 0
		.amdhsa_exception_fp_ieee_overflow 0
		.amdhsa_exception_fp_ieee_underflow 0
		.amdhsa_exception_fp_ieee_inexact 0
		.amdhsa_exception_int_div_zero 0
	.end_amdhsa_kernel
	.section	.text._ZN7rocprim17ROCPRIM_400000_NS6detail17trampoline_kernelINS0_14default_configENS1_20scan_config_selectorIfEEZZNS1_9scan_implILNS1_25lookback_scan_determinismE0ELb1ELb1ES3_N6thrust23THRUST_200600_302600_NS6detail15normal_iteratorINS9_10device_ptrIKfEEEENSB_INSC_IfEEEEfNS9_4plusIvEEfEEDaPvRmT3_T4_T5_mT6_P12ihipStream_tbENKUlT_T0_E_clISt17integral_constantIbLb1EESX_EEDaSS_ST_EUlSS_E0_NS1_11comp_targetILNS1_3genE3ELNS1_11target_archE908ELNS1_3gpuE7ELNS1_3repE0EEENS1_30default_config_static_selectorELNS0_4arch9wavefront6targetE1EEEvT1_,"axG",@progbits,_ZN7rocprim17ROCPRIM_400000_NS6detail17trampoline_kernelINS0_14default_configENS1_20scan_config_selectorIfEEZZNS1_9scan_implILNS1_25lookback_scan_determinismE0ELb1ELb1ES3_N6thrust23THRUST_200600_302600_NS6detail15normal_iteratorINS9_10device_ptrIKfEEEENSB_INSC_IfEEEEfNS9_4plusIvEEfEEDaPvRmT3_T4_T5_mT6_P12ihipStream_tbENKUlT_T0_E_clISt17integral_constantIbLb1EESX_EEDaSS_ST_EUlSS_E0_NS1_11comp_targetILNS1_3genE3ELNS1_11target_archE908ELNS1_3gpuE7ELNS1_3repE0EEENS1_30default_config_static_selectorELNS0_4arch9wavefront6targetE1EEEvT1_,comdat
.Lfunc_end41:
	.size	_ZN7rocprim17ROCPRIM_400000_NS6detail17trampoline_kernelINS0_14default_configENS1_20scan_config_selectorIfEEZZNS1_9scan_implILNS1_25lookback_scan_determinismE0ELb1ELb1ES3_N6thrust23THRUST_200600_302600_NS6detail15normal_iteratorINS9_10device_ptrIKfEEEENSB_INSC_IfEEEEfNS9_4plusIvEEfEEDaPvRmT3_T4_T5_mT6_P12ihipStream_tbENKUlT_T0_E_clISt17integral_constantIbLb1EESX_EEDaSS_ST_EUlSS_E0_NS1_11comp_targetILNS1_3genE3ELNS1_11target_archE908ELNS1_3gpuE7ELNS1_3repE0EEENS1_30default_config_static_selectorELNS0_4arch9wavefront6targetE1EEEvT1_, .Lfunc_end41-_ZN7rocprim17ROCPRIM_400000_NS6detail17trampoline_kernelINS0_14default_configENS1_20scan_config_selectorIfEEZZNS1_9scan_implILNS1_25lookback_scan_determinismE0ELb1ELb1ES3_N6thrust23THRUST_200600_302600_NS6detail15normal_iteratorINS9_10device_ptrIKfEEEENSB_INSC_IfEEEEfNS9_4plusIvEEfEEDaPvRmT3_T4_T5_mT6_P12ihipStream_tbENKUlT_T0_E_clISt17integral_constantIbLb1EESX_EEDaSS_ST_EUlSS_E0_NS1_11comp_targetILNS1_3genE3ELNS1_11target_archE908ELNS1_3gpuE7ELNS1_3repE0EEENS1_30default_config_static_selectorELNS0_4arch9wavefront6targetE1EEEvT1_
                                        ; -- End function
	.section	.AMDGPU.csdata,"",@progbits
; Kernel info:
; codeLenInByte = 0
; NumSgprs: 6
; NumVgprs: 0
; NumAgprs: 0
; TotalNumVgprs: 0
; ScratchSize: 0
; MemoryBound: 0
; FloatMode: 240
; IeeeMode: 1
; LDSByteSize: 0 bytes/workgroup (compile time only)
; SGPRBlocks: 0
; VGPRBlocks: 0
; NumSGPRsForWavesPerEU: 6
; NumVGPRsForWavesPerEU: 1
; AccumOffset: 4
; Occupancy: 8
; WaveLimiterHint : 0
; COMPUTE_PGM_RSRC2:SCRATCH_EN: 0
; COMPUTE_PGM_RSRC2:USER_SGPR: 2
; COMPUTE_PGM_RSRC2:TRAP_HANDLER: 0
; COMPUTE_PGM_RSRC2:TGID_X_EN: 1
; COMPUTE_PGM_RSRC2:TGID_Y_EN: 0
; COMPUTE_PGM_RSRC2:TGID_Z_EN: 0
; COMPUTE_PGM_RSRC2:TIDIG_COMP_CNT: 0
; COMPUTE_PGM_RSRC3_GFX90A:ACCUM_OFFSET: 0
; COMPUTE_PGM_RSRC3_GFX90A:TG_SPLIT: 0
	.section	.text._ZN7rocprim17ROCPRIM_400000_NS6detail17trampoline_kernelINS0_14default_configENS1_20scan_config_selectorIfEEZZNS1_9scan_implILNS1_25lookback_scan_determinismE0ELb1ELb1ES3_N6thrust23THRUST_200600_302600_NS6detail15normal_iteratorINS9_10device_ptrIKfEEEENSB_INSC_IfEEEEfNS9_4plusIvEEfEEDaPvRmT3_T4_T5_mT6_P12ihipStream_tbENKUlT_T0_E_clISt17integral_constantIbLb1EESX_EEDaSS_ST_EUlSS_E0_NS1_11comp_targetILNS1_3genE2ELNS1_11target_archE906ELNS1_3gpuE6ELNS1_3repE0EEENS1_30default_config_static_selectorELNS0_4arch9wavefront6targetE1EEEvT1_,"axG",@progbits,_ZN7rocprim17ROCPRIM_400000_NS6detail17trampoline_kernelINS0_14default_configENS1_20scan_config_selectorIfEEZZNS1_9scan_implILNS1_25lookback_scan_determinismE0ELb1ELb1ES3_N6thrust23THRUST_200600_302600_NS6detail15normal_iteratorINS9_10device_ptrIKfEEEENSB_INSC_IfEEEEfNS9_4plusIvEEfEEDaPvRmT3_T4_T5_mT6_P12ihipStream_tbENKUlT_T0_E_clISt17integral_constantIbLb1EESX_EEDaSS_ST_EUlSS_E0_NS1_11comp_targetILNS1_3genE2ELNS1_11target_archE906ELNS1_3gpuE6ELNS1_3repE0EEENS1_30default_config_static_selectorELNS0_4arch9wavefront6targetE1EEEvT1_,comdat
	.protected	_ZN7rocprim17ROCPRIM_400000_NS6detail17trampoline_kernelINS0_14default_configENS1_20scan_config_selectorIfEEZZNS1_9scan_implILNS1_25lookback_scan_determinismE0ELb1ELb1ES3_N6thrust23THRUST_200600_302600_NS6detail15normal_iteratorINS9_10device_ptrIKfEEEENSB_INSC_IfEEEEfNS9_4plusIvEEfEEDaPvRmT3_T4_T5_mT6_P12ihipStream_tbENKUlT_T0_E_clISt17integral_constantIbLb1EESX_EEDaSS_ST_EUlSS_E0_NS1_11comp_targetILNS1_3genE2ELNS1_11target_archE906ELNS1_3gpuE6ELNS1_3repE0EEENS1_30default_config_static_selectorELNS0_4arch9wavefront6targetE1EEEvT1_ ; -- Begin function _ZN7rocprim17ROCPRIM_400000_NS6detail17trampoline_kernelINS0_14default_configENS1_20scan_config_selectorIfEEZZNS1_9scan_implILNS1_25lookback_scan_determinismE0ELb1ELb1ES3_N6thrust23THRUST_200600_302600_NS6detail15normal_iteratorINS9_10device_ptrIKfEEEENSB_INSC_IfEEEEfNS9_4plusIvEEfEEDaPvRmT3_T4_T5_mT6_P12ihipStream_tbENKUlT_T0_E_clISt17integral_constantIbLb1EESX_EEDaSS_ST_EUlSS_E0_NS1_11comp_targetILNS1_3genE2ELNS1_11target_archE906ELNS1_3gpuE6ELNS1_3repE0EEENS1_30default_config_static_selectorELNS0_4arch9wavefront6targetE1EEEvT1_
	.globl	_ZN7rocprim17ROCPRIM_400000_NS6detail17trampoline_kernelINS0_14default_configENS1_20scan_config_selectorIfEEZZNS1_9scan_implILNS1_25lookback_scan_determinismE0ELb1ELb1ES3_N6thrust23THRUST_200600_302600_NS6detail15normal_iteratorINS9_10device_ptrIKfEEEENSB_INSC_IfEEEEfNS9_4plusIvEEfEEDaPvRmT3_T4_T5_mT6_P12ihipStream_tbENKUlT_T0_E_clISt17integral_constantIbLb1EESX_EEDaSS_ST_EUlSS_E0_NS1_11comp_targetILNS1_3genE2ELNS1_11target_archE906ELNS1_3gpuE6ELNS1_3repE0EEENS1_30default_config_static_selectorELNS0_4arch9wavefront6targetE1EEEvT1_
	.p2align	8
	.type	_ZN7rocprim17ROCPRIM_400000_NS6detail17trampoline_kernelINS0_14default_configENS1_20scan_config_selectorIfEEZZNS1_9scan_implILNS1_25lookback_scan_determinismE0ELb1ELb1ES3_N6thrust23THRUST_200600_302600_NS6detail15normal_iteratorINS9_10device_ptrIKfEEEENSB_INSC_IfEEEEfNS9_4plusIvEEfEEDaPvRmT3_T4_T5_mT6_P12ihipStream_tbENKUlT_T0_E_clISt17integral_constantIbLb1EESX_EEDaSS_ST_EUlSS_E0_NS1_11comp_targetILNS1_3genE2ELNS1_11target_archE906ELNS1_3gpuE6ELNS1_3repE0EEENS1_30default_config_static_selectorELNS0_4arch9wavefront6targetE1EEEvT1_,@function
_ZN7rocprim17ROCPRIM_400000_NS6detail17trampoline_kernelINS0_14default_configENS1_20scan_config_selectorIfEEZZNS1_9scan_implILNS1_25lookback_scan_determinismE0ELb1ELb1ES3_N6thrust23THRUST_200600_302600_NS6detail15normal_iteratorINS9_10device_ptrIKfEEEENSB_INSC_IfEEEEfNS9_4plusIvEEfEEDaPvRmT3_T4_T5_mT6_P12ihipStream_tbENKUlT_T0_E_clISt17integral_constantIbLb1EESX_EEDaSS_ST_EUlSS_E0_NS1_11comp_targetILNS1_3genE2ELNS1_11target_archE906ELNS1_3gpuE6ELNS1_3repE0EEENS1_30default_config_static_selectorELNS0_4arch9wavefront6targetE1EEEvT1_: ; @_ZN7rocprim17ROCPRIM_400000_NS6detail17trampoline_kernelINS0_14default_configENS1_20scan_config_selectorIfEEZZNS1_9scan_implILNS1_25lookback_scan_determinismE0ELb1ELb1ES3_N6thrust23THRUST_200600_302600_NS6detail15normal_iteratorINS9_10device_ptrIKfEEEENSB_INSC_IfEEEEfNS9_4plusIvEEfEEDaPvRmT3_T4_T5_mT6_P12ihipStream_tbENKUlT_T0_E_clISt17integral_constantIbLb1EESX_EEDaSS_ST_EUlSS_E0_NS1_11comp_targetILNS1_3genE2ELNS1_11target_archE906ELNS1_3gpuE6ELNS1_3repE0EEENS1_30default_config_static_selectorELNS0_4arch9wavefront6targetE1EEEvT1_
; %bb.0:
	.section	.rodata,"a",@progbits
	.p2align	6, 0x0
	.amdhsa_kernel _ZN7rocprim17ROCPRIM_400000_NS6detail17trampoline_kernelINS0_14default_configENS1_20scan_config_selectorIfEEZZNS1_9scan_implILNS1_25lookback_scan_determinismE0ELb1ELb1ES3_N6thrust23THRUST_200600_302600_NS6detail15normal_iteratorINS9_10device_ptrIKfEEEENSB_INSC_IfEEEEfNS9_4plusIvEEfEEDaPvRmT3_T4_T5_mT6_P12ihipStream_tbENKUlT_T0_E_clISt17integral_constantIbLb1EESX_EEDaSS_ST_EUlSS_E0_NS1_11comp_targetILNS1_3genE2ELNS1_11target_archE906ELNS1_3gpuE6ELNS1_3repE0EEENS1_30default_config_static_selectorELNS0_4arch9wavefront6targetE1EEEvT1_
		.amdhsa_group_segment_fixed_size 0
		.amdhsa_private_segment_fixed_size 0
		.amdhsa_kernarg_size 32
		.amdhsa_user_sgpr_count 2
		.amdhsa_user_sgpr_dispatch_ptr 0
		.amdhsa_user_sgpr_queue_ptr 0
		.amdhsa_user_sgpr_kernarg_segment_ptr 1
		.amdhsa_user_sgpr_dispatch_id 0
		.amdhsa_user_sgpr_kernarg_preload_length 0
		.amdhsa_user_sgpr_kernarg_preload_offset 0
		.amdhsa_user_sgpr_private_segment_size 0
		.amdhsa_uses_dynamic_stack 0
		.amdhsa_enable_private_segment 0
		.amdhsa_system_sgpr_workgroup_id_x 1
		.amdhsa_system_sgpr_workgroup_id_y 0
		.amdhsa_system_sgpr_workgroup_id_z 0
		.amdhsa_system_sgpr_workgroup_info 0
		.amdhsa_system_vgpr_workitem_id 0
		.amdhsa_next_free_vgpr 1
		.amdhsa_next_free_sgpr 0
		.amdhsa_accum_offset 4
		.amdhsa_reserve_vcc 0
		.amdhsa_float_round_mode_32 0
		.amdhsa_float_round_mode_16_64 0
		.amdhsa_float_denorm_mode_32 3
		.amdhsa_float_denorm_mode_16_64 3
		.amdhsa_dx10_clamp 1
		.amdhsa_ieee_mode 1
		.amdhsa_fp16_overflow 0
		.amdhsa_tg_split 0
		.amdhsa_exception_fp_ieee_invalid_op 0
		.amdhsa_exception_fp_denorm_src 0
		.amdhsa_exception_fp_ieee_div_zero 0
		.amdhsa_exception_fp_ieee_overflow 0
		.amdhsa_exception_fp_ieee_underflow 0
		.amdhsa_exception_fp_ieee_inexact 0
		.amdhsa_exception_int_div_zero 0
	.end_amdhsa_kernel
	.section	.text._ZN7rocprim17ROCPRIM_400000_NS6detail17trampoline_kernelINS0_14default_configENS1_20scan_config_selectorIfEEZZNS1_9scan_implILNS1_25lookback_scan_determinismE0ELb1ELb1ES3_N6thrust23THRUST_200600_302600_NS6detail15normal_iteratorINS9_10device_ptrIKfEEEENSB_INSC_IfEEEEfNS9_4plusIvEEfEEDaPvRmT3_T4_T5_mT6_P12ihipStream_tbENKUlT_T0_E_clISt17integral_constantIbLb1EESX_EEDaSS_ST_EUlSS_E0_NS1_11comp_targetILNS1_3genE2ELNS1_11target_archE906ELNS1_3gpuE6ELNS1_3repE0EEENS1_30default_config_static_selectorELNS0_4arch9wavefront6targetE1EEEvT1_,"axG",@progbits,_ZN7rocprim17ROCPRIM_400000_NS6detail17trampoline_kernelINS0_14default_configENS1_20scan_config_selectorIfEEZZNS1_9scan_implILNS1_25lookback_scan_determinismE0ELb1ELb1ES3_N6thrust23THRUST_200600_302600_NS6detail15normal_iteratorINS9_10device_ptrIKfEEEENSB_INSC_IfEEEEfNS9_4plusIvEEfEEDaPvRmT3_T4_T5_mT6_P12ihipStream_tbENKUlT_T0_E_clISt17integral_constantIbLb1EESX_EEDaSS_ST_EUlSS_E0_NS1_11comp_targetILNS1_3genE2ELNS1_11target_archE906ELNS1_3gpuE6ELNS1_3repE0EEENS1_30default_config_static_selectorELNS0_4arch9wavefront6targetE1EEEvT1_,comdat
.Lfunc_end42:
	.size	_ZN7rocprim17ROCPRIM_400000_NS6detail17trampoline_kernelINS0_14default_configENS1_20scan_config_selectorIfEEZZNS1_9scan_implILNS1_25lookback_scan_determinismE0ELb1ELb1ES3_N6thrust23THRUST_200600_302600_NS6detail15normal_iteratorINS9_10device_ptrIKfEEEENSB_INSC_IfEEEEfNS9_4plusIvEEfEEDaPvRmT3_T4_T5_mT6_P12ihipStream_tbENKUlT_T0_E_clISt17integral_constantIbLb1EESX_EEDaSS_ST_EUlSS_E0_NS1_11comp_targetILNS1_3genE2ELNS1_11target_archE906ELNS1_3gpuE6ELNS1_3repE0EEENS1_30default_config_static_selectorELNS0_4arch9wavefront6targetE1EEEvT1_, .Lfunc_end42-_ZN7rocprim17ROCPRIM_400000_NS6detail17trampoline_kernelINS0_14default_configENS1_20scan_config_selectorIfEEZZNS1_9scan_implILNS1_25lookback_scan_determinismE0ELb1ELb1ES3_N6thrust23THRUST_200600_302600_NS6detail15normal_iteratorINS9_10device_ptrIKfEEEENSB_INSC_IfEEEEfNS9_4plusIvEEfEEDaPvRmT3_T4_T5_mT6_P12ihipStream_tbENKUlT_T0_E_clISt17integral_constantIbLb1EESX_EEDaSS_ST_EUlSS_E0_NS1_11comp_targetILNS1_3genE2ELNS1_11target_archE906ELNS1_3gpuE6ELNS1_3repE0EEENS1_30default_config_static_selectorELNS0_4arch9wavefront6targetE1EEEvT1_
                                        ; -- End function
	.section	.AMDGPU.csdata,"",@progbits
; Kernel info:
; codeLenInByte = 0
; NumSgprs: 6
; NumVgprs: 0
; NumAgprs: 0
; TotalNumVgprs: 0
; ScratchSize: 0
; MemoryBound: 0
; FloatMode: 240
; IeeeMode: 1
; LDSByteSize: 0 bytes/workgroup (compile time only)
; SGPRBlocks: 0
; VGPRBlocks: 0
; NumSGPRsForWavesPerEU: 6
; NumVGPRsForWavesPerEU: 1
; AccumOffset: 4
; Occupancy: 8
; WaveLimiterHint : 0
; COMPUTE_PGM_RSRC2:SCRATCH_EN: 0
; COMPUTE_PGM_RSRC2:USER_SGPR: 2
; COMPUTE_PGM_RSRC2:TRAP_HANDLER: 0
; COMPUTE_PGM_RSRC2:TGID_X_EN: 1
; COMPUTE_PGM_RSRC2:TGID_Y_EN: 0
; COMPUTE_PGM_RSRC2:TGID_Z_EN: 0
; COMPUTE_PGM_RSRC2:TIDIG_COMP_CNT: 0
; COMPUTE_PGM_RSRC3_GFX90A:ACCUM_OFFSET: 0
; COMPUTE_PGM_RSRC3_GFX90A:TG_SPLIT: 0
	.section	.text._ZN7rocprim17ROCPRIM_400000_NS6detail17trampoline_kernelINS0_14default_configENS1_20scan_config_selectorIfEEZZNS1_9scan_implILNS1_25lookback_scan_determinismE0ELb1ELb1ES3_N6thrust23THRUST_200600_302600_NS6detail15normal_iteratorINS9_10device_ptrIKfEEEENSB_INSC_IfEEEEfNS9_4plusIvEEfEEDaPvRmT3_T4_T5_mT6_P12ihipStream_tbENKUlT_T0_E_clISt17integral_constantIbLb1EESX_EEDaSS_ST_EUlSS_E0_NS1_11comp_targetILNS1_3genE10ELNS1_11target_archE1201ELNS1_3gpuE5ELNS1_3repE0EEENS1_30default_config_static_selectorELNS0_4arch9wavefront6targetE1EEEvT1_,"axG",@progbits,_ZN7rocprim17ROCPRIM_400000_NS6detail17trampoline_kernelINS0_14default_configENS1_20scan_config_selectorIfEEZZNS1_9scan_implILNS1_25lookback_scan_determinismE0ELb1ELb1ES3_N6thrust23THRUST_200600_302600_NS6detail15normal_iteratorINS9_10device_ptrIKfEEEENSB_INSC_IfEEEEfNS9_4plusIvEEfEEDaPvRmT3_T4_T5_mT6_P12ihipStream_tbENKUlT_T0_E_clISt17integral_constantIbLb1EESX_EEDaSS_ST_EUlSS_E0_NS1_11comp_targetILNS1_3genE10ELNS1_11target_archE1201ELNS1_3gpuE5ELNS1_3repE0EEENS1_30default_config_static_selectorELNS0_4arch9wavefront6targetE1EEEvT1_,comdat
	.protected	_ZN7rocprim17ROCPRIM_400000_NS6detail17trampoline_kernelINS0_14default_configENS1_20scan_config_selectorIfEEZZNS1_9scan_implILNS1_25lookback_scan_determinismE0ELb1ELb1ES3_N6thrust23THRUST_200600_302600_NS6detail15normal_iteratorINS9_10device_ptrIKfEEEENSB_INSC_IfEEEEfNS9_4plusIvEEfEEDaPvRmT3_T4_T5_mT6_P12ihipStream_tbENKUlT_T0_E_clISt17integral_constantIbLb1EESX_EEDaSS_ST_EUlSS_E0_NS1_11comp_targetILNS1_3genE10ELNS1_11target_archE1201ELNS1_3gpuE5ELNS1_3repE0EEENS1_30default_config_static_selectorELNS0_4arch9wavefront6targetE1EEEvT1_ ; -- Begin function _ZN7rocprim17ROCPRIM_400000_NS6detail17trampoline_kernelINS0_14default_configENS1_20scan_config_selectorIfEEZZNS1_9scan_implILNS1_25lookback_scan_determinismE0ELb1ELb1ES3_N6thrust23THRUST_200600_302600_NS6detail15normal_iteratorINS9_10device_ptrIKfEEEENSB_INSC_IfEEEEfNS9_4plusIvEEfEEDaPvRmT3_T4_T5_mT6_P12ihipStream_tbENKUlT_T0_E_clISt17integral_constantIbLb1EESX_EEDaSS_ST_EUlSS_E0_NS1_11comp_targetILNS1_3genE10ELNS1_11target_archE1201ELNS1_3gpuE5ELNS1_3repE0EEENS1_30default_config_static_selectorELNS0_4arch9wavefront6targetE1EEEvT1_
	.globl	_ZN7rocprim17ROCPRIM_400000_NS6detail17trampoline_kernelINS0_14default_configENS1_20scan_config_selectorIfEEZZNS1_9scan_implILNS1_25lookback_scan_determinismE0ELb1ELb1ES3_N6thrust23THRUST_200600_302600_NS6detail15normal_iteratorINS9_10device_ptrIKfEEEENSB_INSC_IfEEEEfNS9_4plusIvEEfEEDaPvRmT3_T4_T5_mT6_P12ihipStream_tbENKUlT_T0_E_clISt17integral_constantIbLb1EESX_EEDaSS_ST_EUlSS_E0_NS1_11comp_targetILNS1_3genE10ELNS1_11target_archE1201ELNS1_3gpuE5ELNS1_3repE0EEENS1_30default_config_static_selectorELNS0_4arch9wavefront6targetE1EEEvT1_
	.p2align	8
	.type	_ZN7rocprim17ROCPRIM_400000_NS6detail17trampoline_kernelINS0_14default_configENS1_20scan_config_selectorIfEEZZNS1_9scan_implILNS1_25lookback_scan_determinismE0ELb1ELb1ES3_N6thrust23THRUST_200600_302600_NS6detail15normal_iteratorINS9_10device_ptrIKfEEEENSB_INSC_IfEEEEfNS9_4plusIvEEfEEDaPvRmT3_T4_T5_mT6_P12ihipStream_tbENKUlT_T0_E_clISt17integral_constantIbLb1EESX_EEDaSS_ST_EUlSS_E0_NS1_11comp_targetILNS1_3genE10ELNS1_11target_archE1201ELNS1_3gpuE5ELNS1_3repE0EEENS1_30default_config_static_selectorELNS0_4arch9wavefront6targetE1EEEvT1_,@function
_ZN7rocprim17ROCPRIM_400000_NS6detail17trampoline_kernelINS0_14default_configENS1_20scan_config_selectorIfEEZZNS1_9scan_implILNS1_25lookback_scan_determinismE0ELb1ELb1ES3_N6thrust23THRUST_200600_302600_NS6detail15normal_iteratorINS9_10device_ptrIKfEEEENSB_INSC_IfEEEEfNS9_4plusIvEEfEEDaPvRmT3_T4_T5_mT6_P12ihipStream_tbENKUlT_T0_E_clISt17integral_constantIbLb1EESX_EEDaSS_ST_EUlSS_E0_NS1_11comp_targetILNS1_3genE10ELNS1_11target_archE1201ELNS1_3gpuE5ELNS1_3repE0EEENS1_30default_config_static_selectorELNS0_4arch9wavefront6targetE1EEEvT1_: ; @_ZN7rocprim17ROCPRIM_400000_NS6detail17trampoline_kernelINS0_14default_configENS1_20scan_config_selectorIfEEZZNS1_9scan_implILNS1_25lookback_scan_determinismE0ELb1ELb1ES3_N6thrust23THRUST_200600_302600_NS6detail15normal_iteratorINS9_10device_ptrIKfEEEENSB_INSC_IfEEEEfNS9_4plusIvEEfEEDaPvRmT3_T4_T5_mT6_P12ihipStream_tbENKUlT_T0_E_clISt17integral_constantIbLb1EESX_EEDaSS_ST_EUlSS_E0_NS1_11comp_targetILNS1_3genE10ELNS1_11target_archE1201ELNS1_3gpuE5ELNS1_3repE0EEENS1_30default_config_static_selectorELNS0_4arch9wavefront6targetE1EEEvT1_
; %bb.0:
	.section	.rodata,"a",@progbits
	.p2align	6, 0x0
	.amdhsa_kernel _ZN7rocprim17ROCPRIM_400000_NS6detail17trampoline_kernelINS0_14default_configENS1_20scan_config_selectorIfEEZZNS1_9scan_implILNS1_25lookback_scan_determinismE0ELb1ELb1ES3_N6thrust23THRUST_200600_302600_NS6detail15normal_iteratorINS9_10device_ptrIKfEEEENSB_INSC_IfEEEEfNS9_4plusIvEEfEEDaPvRmT3_T4_T5_mT6_P12ihipStream_tbENKUlT_T0_E_clISt17integral_constantIbLb1EESX_EEDaSS_ST_EUlSS_E0_NS1_11comp_targetILNS1_3genE10ELNS1_11target_archE1201ELNS1_3gpuE5ELNS1_3repE0EEENS1_30default_config_static_selectorELNS0_4arch9wavefront6targetE1EEEvT1_
		.amdhsa_group_segment_fixed_size 0
		.amdhsa_private_segment_fixed_size 0
		.amdhsa_kernarg_size 32
		.amdhsa_user_sgpr_count 2
		.amdhsa_user_sgpr_dispatch_ptr 0
		.amdhsa_user_sgpr_queue_ptr 0
		.amdhsa_user_sgpr_kernarg_segment_ptr 1
		.amdhsa_user_sgpr_dispatch_id 0
		.amdhsa_user_sgpr_kernarg_preload_length 0
		.amdhsa_user_sgpr_kernarg_preload_offset 0
		.amdhsa_user_sgpr_private_segment_size 0
		.amdhsa_uses_dynamic_stack 0
		.amdhsa_enable_private_segment 0
		.amdhsa_system_sgpr_workgroup_id_x 1
		.amdhsa_system_sgpr_workgroup_id_y 0
		.amdhsa_system_sgpr_workgroup_id_z 0
		.amdhsa_system_sgpr_workgroup_info 0
		.amdhsa_system_vgpr_workitem_id 0
		.amdhsa_next_free_vgpr 1
		.amdhsa_next_free_sgpr 0
		.amdhsa_accum_offset 4
		.amdhsa_reserve_vcc 0
		.amdhsa_float_round_mode_32 0
		.amdhsa_float_round_mode_16_64 0
		.amdhsa_float_denorm_mode_32 3
		.amdhsa_float_denorm_mode_16_64 3
		.amdhsa_dx10_clamp 1
		.amdhsa_ieee_mode 1
		.amdhsa_fp16_overflow 0
		.amdhsa_tg_split 0
		.amdhsa_exception_fp_ieee_invalid_op 0
		.amdhsa_exception_fp_denorm_src 0
		.amdhsa_exception_fp_ieee_div_zero 0
		.amdhsa_exception_fp_ieee_overflow 0
		.amdhsa_exception_fp_ieee_underflow 0
		.amdhsa_exception_fp_ieee_inexact 0
		.amdhsa_exception_int_div_zero 0
	.end_amdhsa_kernel
	.section	.text._ZN7rocprim17ROCPRIM_400000_NS6detail17trampoline_kernelINS0_14default_configENS1_20scan_config_selectorIfEEZZNS1_9scan_implILNS1_25lookback_scan_determinismE0ELb1ELb1ES3_N6thrust23THRUST_200600_302600_NS6detail15normal_iteratorINS9_10device_ptrIKfEEEENSB_INSC_IfEEEEfNS9_4plusIvEEfEEDaPvRmT3_T4_T5_mT6_P12ihipStream_tbENKUlT_T0_E_clISt17integral_constantIbLb1EESX_EEDaSS_ST_EUlSS_E0_NS1_11comp_targetILNS1_3genE10ELNS1_11target_archE1201ELNS1_3gpuE5ELNS1_3repE0EEENS1_30default_config_static_selectorELNS0_4arch9wavefront6targetE1EEEvT1_,"axG",@progbits,_ZN7rocprim17ROCPRIM_400000_NS6detail17trampoline_kernelINS0_14default_configENS1_20scan_config_selectorIfEEZZNS1_9scan_implILNS1_25lookback_scan_determinismE0ELb1ELb1ES3_N6thrust23THRUST_200600_302600_NS6detail15normal_iteratorINS9_10device_ptrIKfEEEENSB_INSC_IfEEEEfNS9_4plusIvEEfEEDaPvRmT3_T4_T5_mT6_P12ihipStream_tbENKUlT_T0_E_clISt17integral_constantIbLb1EESX_EEDaSS_ST_EUlSS_E0_NS1_11comp_targetILNS1_3genE10ELNS1_11target_archE1201ELNS1_3gpuE5ELNS1_3repE0EEENS1_30default_config_static_selectorELNS0_4arch9wavefront6targetE1EEEvT1_,comdat
.Lfunc_end43:
	.size	_ZN7rocprim17ROCPRIM_400000_NS6detail17trampoline_kernelINS0_14default_configENS1_20scan_config_selectorIfEEZZNS1_9scan_implILNS1_25lookback_scan_determinismE0ELb1ELb1ES3_N6thrust23THRUST_200600_302600_NS6detail15normal_iteratorINS9_10device_ptrIKfEEEENSB_INSC_IfEEEEfNS9_4plusIvEEfEEDaPvRmT3_T4_T5_mT6_P12ihipStream_tbENKUlT_T0_E_clISt17integral_constantIbLb1EESX_EEDaSS_ST_EUlSS_E0_NS1_11comp_targetILNS1_3genE10ELNS1_11target_archE1201ELNS1_3gpuE5ELNS1_3repE0EEENS1_30default_config_static_selectorELNS0_4arch9wavefront6targetE1EEEvT1_, .Lfunc_end43-_ZN7rocprim17ROCPRIM_400000_NS6detail17trampoline_kernelINS0_14default_configENS1_20scan_config_selectorIfEEZZNS1_9scan_implILNS1_25lookback_scan_determinismE0ELb1ELb1ES3_N6thrust23THRUST_200600_302600_NS6detail15normal_iteratorINS9_10device_ptrIKfEEEENSB_INSC_IfEEEEfNS9_4plusIvEEfEEDaPvRmT3_T4_T5_mT6_P12ihipStream_tbENKUlT_T0_E_clISt17integral_constantIbLb1EESX_EEDaSS_ST_EUlSS_E0_NS1_11comp_targetILNS1_3genE10ELNS1_11target_archE1201ELNS1_3gpuE5ELNS1_3repE0EEENS1_30default_config_static_selectorELNS0_4arch9wavefront6targetE1EEEvT1_
                                        ; -- End function
	.section	.AMDGPU.csdata,"",@progbits
; Kernel info:
; codeLenInByte = 0
; NumSgprs: 6
; NumVgprs: 0
; NumAgprs: 0
; TotalNumVgprs: 0
; ScratchSize: 0
; MemoryBound: 0
; FloatMode: 240
; IeeeMode: 1
; LDSByteSize: 0 bytes/workgroup (compile time only)
; SGPRBlocks: 0
; VGPRBlocks: 0
; NumSGPRsForWavesPerEU: 6
; NumVGPRsForWavesPerEU: 1
; AccumOffset: 4
; Occupancy: 8
; WaveLimiterHint : 0
; COMPUTE_PGM_RSRC2:SCRATCH_EN: 0
; COMPUTE_PGM_RSRC2:USER_SGPR: 2
; COMPUTE_PGM_RSRC2:TRAP_HANDLER: 0
; COMPUTE_PGM_RSRC2:TGID_X_EN: 1
; COMPUTE_PGM_RSRC2:TGID_Y_EN: 0
; COMPUTE_PGM_RSRC2:TGID_Z_EN: 0
; COMPUTE_PGM_RSRC2:TIDIG_COMP_CNT: 0
; COMPUTE_PGM_RSRC3_GFX90A:ACCUM_OFFSET: 0
; COMPUTE_PGM_RSRC3_GFX90A:TG_SPLIT: 0
	.section	.text._ZN7rocprim17ROCPRIM_400000_NS6detail17trampoline_kernelINS0_14default_configENS1_20scan_config_selectorIfEEZZNS1_9scan_implILNS1_25lookback_scan_determinismE0ELb1ELb1ES3_N6thrust23THRUST_200600_302600_NS6detail15normal_iteratorINS9_10device_ptrIKfEEEENSB_INSC_IfEEEEfNS9_4plusIvEEfEEDaPvRmT3_T4_T5_mT6_P12ihipStream_tbENKUlT_T0_E_clISt17integral_constantIbLb1EESX_EEDaSS_ST_EUlSS_E0_NS1_11comp_targetILNS1_3genE10ELNS1_11target_archE1200ELNS1_3gpuE4ELNS1_3repE0EEENS1_30default_config_static_selectorELNS0_4arch9wavefront6targetE1EEEvT1_,"axG",@progbits,_ZN7rocprim17ROCPRIM_400000_NS6detail17trampoline_kernelINS0_14default_configENS1_20scan_config_selectorIfEEZZNS1_9scan_implILNS1_25lookback_scan_determinismE0ELb1ELb1ES3_N6thrust23THRUST_200600_302600_NS6detail15normal_iteratorINS9_10device_ptrIKfEEEENSB_INSC_IfEEEEfNS9_4plusIvEEfEEDaPvRmT3_T4_T5_mT6_P12ihipStream_tbENKUlT_T0_E_clISt17integral_constantIbLb1EESX_EEDaSS_ST_EUlSS_E0_NS1_11comp_targetILNS1_3genE10ELNS1_11target_archE1200ELNS1_3gpuE4ELNS1_3repE0EEENS1_30default_config_static_selectorELNS0_4arch9wavefront6targetE1EEEvT1_,comdat
	.protected	_ZN7rocprim17ROCPRIM_400000_NS6detail17trampoline_kernelINS0_14default_configENS1_20scan_config_selectorIfEEZZNS1_9scan_implILNS1_25lookback_scan_determinismE0ELb1ELb1ES3_N6thrust23THRUST_200600_302600_NS6detail15normal_iteratorINS9_10device_ptrIKfEEEENSB_INSC_IfEEEEfNS9_4plusIvEEfEEDaPvRmT3_T4_T5_mT6_P12ihipStream_tbENKUlT_T0_E_clISt17integral_constantIbLb1EESX_EEDaSS_ST_EUlSS_E0_NS1_11comp_targetILNS1_3genE10ELNS1_11target_archE1200ELNS1_3gpuE4ELNS1_3repE0EEENS1_30default_config_static_selectorELNS0_4arch9wavefront6targetE1EEEvT1_ ; -- Begin function _ZN7rocprim17ROCPRIM_400000_NS6detail17trampoline_kernelINS0_14default_configENS1_20scan_config_selectorIfEEZZNS1_9scan_implILNS1_25lookback_scan_determinismE0ELb1ELb1ES3_N6thrust23THRUST_200600_302600_NS6detail15normal_iteratorINS9_10device_ptrIKfEEEENSB_INSC_IfEEEEfNS9_4plusIvEEfEEDaPvRmT3_T4_T5_mT6_P12ihipStream_tbENKUlT_T0_E_clISt17integral_constantIbLb1EESX_EEDaSS_ST_EUlSS_E0_NS1_11comp_targetILNS1_3genE10ELNS1_11target_archE1200ELNS1_3gpuE4ELNS1_3repE0EEENS1_30default_config_static_selectorELNS0_4arch9wavefront6targetE1EEEvT1_
	.globl	_ZN7rocprim17ROCPRIM_400000_NS6detail17trampoline_kernelINS0_14default_configENS1_20scan_config_selectorIfEEZZNS1_9scan_implILNS1_25lookback_scan_determinismE0ELb1ELb1ES3_N6thrust23THRUST_200600_302600_NS6detail15normal_iteratorINS9_10device_ptrIKfEEEENSB_INSC_IfEEEEfNS9_4plusIvEEfEEDaPvRmT3_T4_T5_mT6_P12ihipStream_tbENKUlT_T0_E_clISt17integral_constantIbLb1EESX_EEDaSS_ST_EUlSS_E0_NS1_11comp_targetILNS1_3genE10ELNS1_11target_archE1200ELNS1_3gpuE4ELNS1_3repE0EEENS1_30default_config_static_selectorELNS0_4arch9wavefront6targetE1EEEvT1_
	.p2align	8
	.type	_ZN7rocprim17ROCPRIM_400000_NS6detail17trampoline_kernelINS0_14default_configENS1_20scan_config_selectorIfEEZZNS1_9scan_implILNS1_25lookback_scan_determinismE0ELb1ELb1ES3_N6thrust23THRUST_200600_302600_NS6detail15normal_iteratorINS9_10device_ptrIKfEEEENSB_INSC_IfEEEEfNS9_4plusIvEEfEEDaPvRmT3_T4_T5_mT6_P12ihipStream_tbENKUlT_T0_E_clISt17integral_constantIbLb1EESX_EEDaSS_ST_EUlSS_E0_NS1_11comp_targetILNS1_3genE10ELNS1_11target_archE1200ELNS1_3gpuE4ELNS1_3repE0EEENS1_30default_config_static_selectorELNS0_4arch9wavefront6targetE1EEEvT1_,@function
_ZN7rocprim17ROCPRIM_400000_NS6detail17trampoline_kernelINS0_14default_configENS1_20scan_config_selectorIfEEZZNS1_9scan_implILNS1_25lookback_scan_determinismE0ELb1ELb1ES3_N6thrust23THRUST_200600_302600_NS6detail15normal_iteratorINS9_10device_ptrIKfEEEENSB_INSC_IfEEEEfNS9_4plusIvEEfEEDaPvRmT3_T4_T5_mT6_P12ihipStream_tbENKUlT_T0_E_clISt17integral_constantIbLb1EESX_EEDaSS_ST_EUlSS_E0_NS1_11comp_targetILNS1_3genE10ELNS1_11target_archE1200ELNS1_3gpuE4ELNS1_3repE0EEENS1_30default_config_static_selectorELNS0_4arch9wavefront6targetE1EEEvT1_: ; @_ZN7rocprim17ROCPRIM_400000_NS6detail17trampoline_kernelINS0_14default_configENS1_20scan_config_selectorIfEEZZNS1_9scan_implILNS1_25lookback_scan_determinismE0ELb1ELb1ES3_N6thrust23THRUST_200600_302600_NS6detail15normal_iteratorINS9_10device_ptrIKfEEEENSB_INSC_IfEEEEfNS9_4plusIvEEfEEDaPvRmT3_T4_T5_mT6_P12ihipStream_tbENKUlT_T0_E_clISt17integral_constantIbLb1EESX_EEDaSS_ST_EUlSS_E0_NS1_11comp_targetILNS1_3genE10ELNS1_11target_archE1200ELNS1_3gpuE4ELNS1_3repE0EEENS1_30default_config_static_selectorELNS0_4arch9wavefront6targetE1EEEvT1_
; %bb.0:
	.section	.rodata,"a",@progbits
	.p2align	6, 0x0
	.amdhsa_kernel _ZN7rocprim17ROCPRIM_400000_NS6detail17trampoline_kernelINS0_14default_configENS1_20scan_config_selectorIfEEZZNS1_9scan_implILNS1_25lookback_scan_determinismE0ELb1ELb1ES3_N6thrust23THRUST_200600_302600_NS6detail15normal_iteratorINS9_10device_ptrIKfEEEENSB_INSC_IfEEEEfNS9_4plusIvEEfEEDaPvRmT3_T4_T5_mT6_P12ihipStream_tbENKUlT_T0_E_clISt17integral_constantIbLb1EESX_EEDaSS_ST_EUlSS_E0_NS1_11comp_targetILNS1_3genE10ELNS1_11target_archE1200ELNS1_3gpuE4ELNS1_3repE0EEENS1_30default_config_static_selectorELNS0_4arch9wavefront6targetE1EEEvT1_
		.amdhsa_group_segment_fixed_size 0
		.amdhsa_private_segment_fixed_size 0
		.amdhsa_kernarg_size 32
		.amdhsa_user_sgpr_count 2
		.amdhsa_user_sgpr_dispatch_ptr 0
		.amdhsa_user_sgpr_queue_ptr 0
		.amdhsa_user_sgpr_kernarg_segment_ptr 1
		.amdhsa_user_sgpr_dispatch_id 0
		.amdhsa_user_sgpr_kernarg_preload_length 0
		.amdhsa_user_sgpr_kernarg_preload_offset 0
		.amdhsa_user_sgpr_private_segment_size 0
		.amdhsa_uses_dynamic_stack 0
		.amdhsa_enable_private_segment 0
		.amdhsa_system_sgpr_workgroup_id_x 1
		.amdhsa_system_sgpr_workgroup_id_y 0
		.amdhsa_system_sgpr_workgroup_id_z 0
		.amdhsa_system_sgpr_workgroup_info 0
		.amdhsa_system_vgpr_workitem_id 0
		.amdhsa_next_free_vgpr 1
		.amdhsa_next_free_sgpr 0
		.amdhsa_accum_offset 4
		.amdhsa_reserve_vcc 0
		.amdhsa_float_round_mode_32 0
		.amdhsa_float_round_mode_16_64 0
		.amdhsa_float_denorm_mode_32 3
		.amdhsa_float_denorm_mode_16_64 3
		.amdhsa_dx10_clamp 1
		.amdhsa_ieee_mode 1
		.amdhsa_fp16_overflow 0
		.amdhsa_tg_split 0
		.amdhsa_exception_fp_ieee_invalid_op 0
		.amdhsa_exception_fp_denorm_src 0
		.amdhsa_exception_fp_ieee_div_zero 0
		.amdhsa_exception_fp_ieee_overflow 0
		.amdhsa_exception_fp_ieee_underflow 0
		.amdhsa_exception_fp_ieee_inexact 0
		.amdhsa_exception_int_div_zero 0
	.end_amdhsa_kernel
	.section	.text._ZN7rocprim17ROCPRIM_400000_NS6detail17trampoline_kernelINS0_14default_configENS1_20scan_config_selectorIfEEZZNS1_9scan_implILNS1_25lookback_scan_determinismE0ELb1ELb1ES3_N6thrust23THRUST_200600_302600_NS6detail15normal_iteratorINS9_10device_ptrIKfEEEENSB_INSC_IfEEEEfNS9_4plusIvEEfEEDaPvRmT3_T4_T5_mT6_P12ihipStream_tbENKUlT_T0_E_clISt17integral_constantIbLb1EESX_EEDaSS_ST_EUlSS_E0_NS1_11comp_targetILNS1_3genE10ELNS1_11target_archE1200ELNS1_3gpuE4ELNS1_3repE0EEENS1_30default_config_static_selectorELNS0_4arch9wavefront6targetE1EEEvT1_,"axG",@progbits,_ZN7rocprim17ROCPRIM_400000_NS6detail17trampoline_kernelINS0_14default_configENS1_20scan_config_selectorIfEEZZNS1_9scan_implILNS1_25lookback_scan_determinismE0ELb1ELb1ES3_N6thrust23THRUST_200600_302600_NS6detail15normal_iteratorINS9_10device_ptrIKfEEEENSB_INSC_IfEEEEfNS9_4plusIvEEfEEDaPvRmT3_T4_T5_mT6_P12ihipStream_tbENKUlT_T0_E_clISt17integral_constantIbLb1EESX_EEDaSS_ST_EUlSS_E0_NS1_11comp_targetILNS1_3genE10ELNS1_11target_archE1200ELNS1_3gpuE4ELNS1_3repE0EEENS1_30default_config_static_selectorELNS0_4arch9wavefront6targetE1EEEvT1_,comdat
.Lfunc_end44:
	.size	_ZN7rocprim17ROCPRIM_400000_NS6detail17trampoline_kernelINS0_14default_configENS1_20scan_config_selectorIfEEZZNS1_9scan_implILNS1_25lookback_scan_determinismE0ELb1ELb1ES3_N6thrust23THRUST_200600_302600_NS6detail15normal_iteratorINS9_10device_ptrIKfEEEENSB_INSC_IfEEEEfNS9_4plusIvEEfEEDaPvRmT3_T4_T5_mT6_P12ihipStream_tbENKUlT_T0_E_clISt17integral_constantIbLb1EESX_EEDaSS_ST_EUlSS_E0_NS1_11comp_targetILNS1_3genE10ELNS1_11target_archE1200ELNS1_3gpuE4ELNS1_3repE0EEENS1_30default_config_static_selectorELNS0_4arch9wavefront6targetE1EEEvT1_, .Lfunc_end44-_ZN7rocprim17ROCPRIM_400000_NS6detail17trampoline_kernelINS0_14default_configENS1_20scan_config_selectorIfEEZZNS1_9scan_implILNS1_25lookback_scan_determinismE0ELb1ELb1ES3_N6thrust23THRUST_200600_302600_NS6detail15normal_iteratorINS9_10device_ptrIKfEEEENSB_INSC_IfEEEEfNS9_4plusIvEEfEEDaPvRmT3_T4_T5_mT6_P12ihipStream_tbENKUlT_T0_E_clISt17integral_constantIbLb1EESX_EEDaSS_ST_EUlSS_E0_NS1_11comp_targetILNS1_3genE10ELNS1_11target_archE1200ELNS1_3gpuE4ELNS1_3repE0EEENS1_30default_config_static_selectorELNS0_4arch9wavefront6targetE1EEEvT1_
                                        ; -- End function
	.section	.AMDGPU.csdata,"",@progbits
; Kernel info:
; codeLenInByte = 0
; NumSgprs: 6
; NumVgprs: 0
; NumAgprs: 0
; TotalNumVgprs: 0
; ScratchSize: 0
; MemoryBound: 0
; FloatMode: 240
; IeeeMode: 1
; LDSByteSize: 0 bytes/workgroup (compile time only)
; SGPRBlocks: 0
; VGPRBlocks: 0
; NumSGPRsForWavesPerEU: 6
; NumVGPRsForWavesPerEU: 1
; AccumOffset: 4
; Occupancy: 8
; WaveLimiterHint : 0
; COMPUTE_PGM_RSRC2:SCRATCH_EN: 0
; COMPUTE_PGM_RSRC2:USER_SGPR: 2
; COMPUTE_PGM_RSRC2:TRAP_HANDLER: 0
; COMPUTE_PGM_RSRC2:TGID_X_EN: 1
; COMPUTE_PGM_RSRC2:TGID_Y_EN: 0
; COMPUTE_PGM_RSRC2:TGID_Z_EN: 0
; COMPUTE_PGM_RSRC2:TIDIG_COMP_CNT: 0
; COMPUTE_PGM_RSRC3_GFX90A:ACCUM_OFFSET: 0
; COMPUTE_PGM_RSRC3_GFX90A:TG_SPLIT: 0
	.section	.text._ZN7rocprim17ROCPRIM_400000_NS6detail17trampoline_kernelINS0_14default_configENS1_20scan_config_selectorIfEEZZNS1_9scan_implILNS1_25lookback_scan_determinismE0ELb1ELb1ES3_N6thrust23THRUST_200600_302600_NS6detail15normal_iteratorINS9_10device_ptrIKfEEEENSB_INSC_IfEEEEfNS9_4plusIvEEfEEDaPvRmT3_T4_T5_mT6_P12ihipStream_tbENKUlT_T0_E_clISt17integral_constantIbLb1EESX_EEDaSS_ST_EUlSS_E0_NS1_11comp_targetILNS1_3genE9ELNS1_11target_archE1100ELNS1_3gpuE3ELNS1_3repE0EEENS1_30default_config_static_selectorELNS0_4arch9wavefront6targetE1EEEvT1_,"axG",@progbits,_ZN7rocprim17ROCPRIM_400000_NS6detail17trampoline_kernelINS0_14default_configENS1_20scan_config_selectorIfEEZZNS1_9scan_implILNS1_25lookback_scan_determinismE0ELb1ELb1ES3_N6thrust23THRUST_200600_302600_NS6detail15normal_iteratorINS9_10device_ptrIKfEEEENSB_INSC_IfEEEEfNS9_4plusIvEEfEEDaPvRmT3_T4_T5_mT6_P12ihipStream_tbENKUlT_T0_E_clISt17integral_constantIbLb1EESX_EEDaSS_ST_EUlSS_E0_NS1_11comp_targetILNS1_3genE9ELNS1_11target_archE1100ELNS1_3gpuE3ELNS1_3repE0EEENS1_30default_config_static_selectorELNS0_4arch9wavefront6targetE1EEEvT1_,comdat
	.protected	_ZN7rocprim17ROCPRIM_400000_NS6detail17trampoline_kernelINS0_14default_configENS1_20scan_config_selectorIfEEZZNS1_9scan_implILNS1_25lookback_scan_determinismE0ELb1ELb1ES3_N6thrust23THRUST_200600_302600_NS6detail15normal_iteratorINS9_10device_ptrIKfEEEENSB_INSC_IfEEEEfNS9_4plusIvEEfEEDaPvRmT3_T4_T5_mT6_P12ihipStream_tbENKUlT_T0_E_clISt17integral_constantIbLb1EESX_EEDaSS_ST_EUlSS_E0_NS1_11comp_targetILNS1_3genE9ELNS1_11target_archE1100ELNS1_3gpuE3ELNS1_3repE0EEENS1_30default_config_static_selectorELNS0_4arch9wavefront6targetE1EEEvT1_ ; -- Begin function _ZN7rocprim17ROCPRIM_400000_NS6detail17trampoline_kernelINS0_14default_configENS1_20scan_config_selectorIfEEZZNS1_9scan_implILNS1_25lookback_scan_determinismE0ELb1ELb1ES3_N6thrust23THRUST_200600_302600_NS6detail15normal_iteratorINS9_10device_ptrIKfEEEENSB_INSC_IfEEEEfNS9_4plusIvEEfEEDaPvRmT3_T4_T5_mT6_P12ihipStream_tbENKUlT_T0_E_clISt17integral_constantIbLb1EESX_EEDaSS_ST_EUlSS_E0_NS1_11comp_targetILNS1_3genE9ELNS1_11target_archE1100ELNS1_3gpuE3ELNS1_3repE0EEENS1_30default_config_static_selectorELNS0_4arch9wavefront6targetE1EEEvT1_
	.globl	_ZN7rocprim17ROCPRIM_400000_NS6detail17trampoline_kernelINS0_14default_configENS1_20scan_config_selectorIfEEZZNS1_9scan_implILNS1_25lookback_scan_determinismE0ELb1ELb1ES3_N6thrust23THRUST_200600_302600_NS6detail15normal_iteratorINS9_10device_ptrIKfEEEENSB_INSC_IfEEEEfNS9_4plusIvEEfEEDaPvRmT3_T4_T5_mT6_P12ihipStream_tbENKUlT_T0_E_clISt17integral_constantIbLb1EESX_EEDaSS_ST_EUlSS_E0_NS1_11comp_targetILNS1_3genE9ELNS1_11target_archE1100ELNS1_3gpuE3ELNS1_3repE0EEENS1_30default_config_static_selectorELNS0_4arch9wavefront6targetE1EEEvT1_
	.p2align	8
	.type	_ZN7rocprim17ROCPRIM_400000_NS6detail17trampoline_kernelINS0_14default_configENS1_20scan_config_selectorIfEEZZNS1_9scan_implILNS1_25lookback_scan_determinismE0ELb1ELb1ES3_N6thrust23THRUST_200600_302600_NS6detail15normal_iteratorINS9_10device_ptrIKfEEEENSB_INSC_IfEEEEfNS9_4plusIvEEfEEDaPvRmT3_T4_T5_mT6_P12ihipStream_tbENKUlT_T0_E_clISt17integral_constantIbLb1EESX_EEDaSS_ST_EUlSS_E0_NS1_11comp_targetILNS1_3genE9ELNS1_11target_archE1100ELNS1_3gpuE3ELNS1_3repE0EEENS1_30default_config_static_selectorELNS0_4arch9wavefront6targetE1EEEvT1_,@function
_ZN7rocprim17ROCPRIM_400000_NS6detail17trampoline_kernelINS0_14default_configENS1_20scan_config_selectorIfEEZZNS1_9scan_implILNS1_25lookback_scan_determinismE0ELb1ELb1ES3_N6thrust23THRUST_200600_302600_NS6detail15normal_iteratorINS9_10device_ptrIKfEEEENSB_INSC_IfEEEEfNS9_4plusIvEEfEEDaPvRmT3_T4_T5_mT6_P12ihipStream_tbENKUlT_T0_E_clISt17integral_constantIbLb1EESX_EEDaSS_ST_EUlSS_E0_NS1_11comp_targetILNS1_3genE9ELNS1_11target_archE1100ELNS1_3gpuE3ELNS1_3repE0EEENS1_30default_config_static_selectorELNS0_4arch9wavefront6targetE1EEEvT1_: ; @_ZN7rocprim17ROCPRIM_400000_NS6detail17trampoline_kernelINS0_14default_configENS1_20scan_config_selectorIfEEZZNS1_9scan_implILNS1_25lookback_scan_determinismE0ELb1ELb1ES3_N6thrust23THRUST_200600_302600_NS6detail15normal_iteratorINS9_10device_ptrIKfEEEENSB_INSC_IfEEEEfNS9_4plusIvEEfEEDaPvRmT3_T4_T5_mT6_P12ihipStream_tbENKUlT_T0_E_clISt17integral_constantIbLb1EESX_EEDaSS_ST_EUlSS_E0_NS1_11comp_targetILNS1_3genE9ELNS1_11target_archE1100ELNS1_3gpuE3ELNS1_3repE0EEENS1_30default_config_static_selectorELNS0_4arch9wavefront6targetE1EEEvT1_
; %bb.0:
	.section	.rodata,"a",@progbits
	.p2align	6, 0x0
	.amdhsa_kernel _ZN7rocprim17ROCPRIM_400000_NS6detail17trampoline_kernelINS0_14default_configENS1_20scan_config_selectorIfEEZZNS1_9scan_implILNS1_25lookback_scan_determinismE0ELb1ELb1ES3_N6thrust23THRUST_200600_302600_NS6detail15normal_iteratorINS9_10device_ptrIKfEEEENSB_INSC_IfEEEEfNS9_4plusIvEEfEEDaPvRmT3_T4_T5_mT6_P12ihipStream_tbENKUlT_T0_E_clISt17integral_constantIbLb1EESX_EEDaSS_ST_EUlSS_E0_NS1_11comp_targetILNS1_3genE9ELNS1_11target_archE1100ELNS1_3gpuE3ELNS1_3repE0EEENS1_30default_config_static_selectorELNS0_4arch9wavefront6targetE1EEEvT1_
		.amdhsa_group_segment_fixed_size 0
		.amdhsa_private_segment_fixed_size 0
		.amdhsa_kernarg_size 32
		.amdhsa_user_sgpr_count 2
		.amdhsa_user_sgpr_dispatch_ptr 0
		.amdhsa_user_sgpr_queue_ptr 0
		.amdhsa_user_sgpr_kernarg_segment_ptr 1
		.amdhsa_user_sgpr_dispatch_id 0
		.amdhsa_user_sgpr_kernarg_preload_length 0
		.amdhsa_user_sgpr_kernarg_preload_offset 0
		.amdhsa_user_sgpr_private_segment_size 0
		.amdhsa_uses_dynamic_stack 0
		.amdhsa_enable_private_segment 0
		.amdhsa_system_sgpr_workgroup_id_x 1
		.amdhsa_system_sgpr_workgroup_id_y 0
		.amdhsa_system_sgpr_workgroup_id_z 0
		.amdhsa_system_sgpr_workgroup_info 0
		.amdhsa_system_vgpr_workitem_id 0
		.amdhsa_next_free_vgpr 1
		.amdhsa_next_free_sgpr 0
		.amdhsa_accum_offset 4
		.amdhsa_reserve_vcc 0
		.amdhsa_float_round_mode_32 0
		.amdhsa_float_round_mode_16_64 0
		.amdhsa_float_denorm_mode_32 3
		.amdhsa_float_denorm_mode_16_64 3
		.amdhsa_dx10_clamp 1
		.amdhsa_ieee_mode 1
		.amdhsa_fp16_overflow 0
		.amdhsa_tg_split 0
		.amdhsa_exception_fp_ieee_invalid_op 0
		.amdhsa_exception_fp_denorm_src 0
		.amdhsa_exception_fp_ieee_div_zero 0
		.amdhsa_exception_fp_ieee_overflow 0
		.amdhsa_exception_fp_ieee_underflow 0
		.amdhsa_exception_fp_ieee_inexact 0
		.amdhsa_exception_int_div_zero 0
	.end_amdhsa_kernel
	.section	.text._ZN7rocprim17ROCPRIM_400000_NS6detail17trampoline_kernelINS0_14default_configENS1_20scan_config_selectorIfEEZZNS1_9scan_implILNS1_25lookback_scan_determinismE0ELb1ELb1ES3_N6thrust23THRUST_200600_302600_NS6detail15normal_iteratorINS9_10device_ptrIKfEEEENSB_INSC_IfEEEEfNS9_4plusIvEEfEEDaPvRmT3_T4_T5_mT6_P12ihipStream_tbENKUlT_T0_E_clISt17integral_constantIbLb1EESX_EEDaSS_ST_EUlSS_E0_NS1_11comp_targetILNS1_3genE9ELNS1_11target_archE1100ELNS1_3gpuE3ELNS1_3repE0EEENS1_30default_config_static_selectorELNS0_4arch9wavefront6targetE1EEEvT1_,"axG",@progbits,_ZN7rocprim17ROCPRIM_400000_NS6detail17trampoline_kernelINS0_14default_configENS1_20scan_config_selectorIfEEZZNS1_9scan_implILNS1_25lookback_scan_determinismE0ELb1ELb1ES3_N6thrust23THRUST_200600_302600_NS6detail15normal_iteratorINS9_10device_ptrIKfEEEENSB_INSC_IfEEEEfNS9_4plusIvEEfEEDaPvRmT3_T4_T5_mT6_P12ihipStream_tbENKUlT_T0_E_clISt17integral_constantIbLb1EESX_EEDaSS_ST_EUlSS_E0_NS1_11comp_targetILNS1_3genE9ELNS1_11target_archE1100ELNS1_3gpuE3ELNS1_3repE0EEENS1_30default_config_static_selectorELNS0_4arch9wavefront6targetE1EEEvT1_,comdat
.Lfunc_end45:
	.size	_ZN7rocprim17ROCPRIM_400000_NS6detail17trampoline_kernelINS0_14default_configENS1_20scan_config_selectorIfEEZZNS1_9scan_implILNS1_25lookback_scan_determinismE0ELb1ELb1ES3_N6thrust23THRUST_200600_302600_NS6detail15normal_iteratorINS9_10device_ptrIKfEEEENSB_INSC_IfEEEEfNS9_4plusIvEEfEEDaPvRmT3_T4_T5_mT6_P12ihipStream_tbENKUlT_T0_E_clISt17integral_constantIbLb1EESX_EEDaSS_ST_EUlSS_E0_NS1_11comp_targetILNS1_3genE9ELNS1_11target_archE1100ELNS1_3gpuE3ELNS1_3repE0EEENS1_30default_config_static_selectorELNS0_4arch9wavefront6targetE1EEEvT1_, .Lfunc_end45-_ZN7rocprim17ROCPRIM_400000_NS6detail17trampoline_kernelINS0_14default_configENS1_20scan_config_selectorIfEEZZNS1_9scan_implILNS1_25lookback_scan_determinismE0ELb1ELb1ES3_N6thrust23THRUST_200600_302600_NS6detail15normal_iteratorINS9_10device_ptrIKfEEEENSB_INSC_IfEEEEfNS9_4plusIvEEfEEDaPvRmT3_T4_T5_mT6_P12ihipStream_tbENKUlT_T0_E_clISt17integral_constantIbLb1EESX_EEDaSS_ST_EUlSS_E0_NS1_11comp_targetILNS1_3genE9ELNS1_11target_archE1100ELNS1_3gpuE3ELNS1_3repE0EEENS1_30default_config_static_selectorELNS0_4arch9wavefront6targetE1EEEvT1_
                                        ; -- End function
	.section	.AMDGPU.csdata,"",@progbits
; Kernel info:
; codeLenInByte = 0
; NumSgprs: 6
; NumVgprs: 0
; NumAgprs: 0
; TotalNumVgprs: 0
; ScratchSize: 0
; MemoryBound: 0
; FloatMode: 240
; IeeeMode: 1
; LDSByteSize: 0 bytes/workgroup (compile time only)
; SGPRBlocks: 0
; VGPRBlocks: 0
; NumSGPRsForWavesPerEU: 6
; NumVGPRsForWavesPerEU: 1
; AccumOffset: 4
; Occupancy: 8
; WaveLimiterHint : 0
; COMPUTE_PGM_RSRC2:SCRATCH_EN: 0
; COMPUTE_PGM_RSRC2:USER_SGPR: 2
; COMPUTE_PGM_RSRC2:TRAP_HANDLER: 0
; COMPUTE_PGM_RSRC2:TGID_X_EN: 1
; COMPUTE_PGM_RSRC2:TGID_Y_EN: 0
; COMPUTE_PGM_RSRC2:TGID_Z_EN: 0
; COMPUTE_PGM_RSRC2:TIDIG_COMP_CNT: 0
; COMPUTE_PGM_RSRC3_GFX90A:ACCUM_OFFSET: 0
; COMPUTE_PGM_RSRC3_GFX90A:TG_SPLIT: 0
	.section	.text._ZN7rocprim17ROCPRIM_400000_NS6detail17trampoline_kernelINS0_14default_configENS1_20scan_config_selectorIfEEZZNS1_9scan_implILNS1_25lookback_scan_determinismE0ELb1ELb1ES3_N6thrust23THRUST_200600_302600_NS6detail15normal_iteratorINS9_10device_ptrIKfEEEENSB_INSC_IfEEEEfNS9_4plusIvEEfEEDaPvRmT3_T4_T5_mT6_P12ihipStream_tbENKUlT_T0_E_clISt17integral_constantIbLb1EESX_EEDaSS_ST_EUlSS_E0_NS1_11comp_targetILNS1_3genE8ELNS1_11target_archE1030ELNS1_3gpuE2ELNS1_3repE0EEENS1_30default_config_static_selectorELNS0_4arch9wavefront6targetE1EEEvT1_,"axG",@progbits,_ZN7rocprim17ROCPRIM_400000_NS6detail17trampoline_kernelINS0_14default_configENS1_20scan_config_selectorIfEEZZNS1_9scan_implILNS1_25lookback_scan_determinismE0ELb1ELb1ES3_N6thrust23THRUST_200600_302600_NS6detail15normal_iteratorINS9_10device_ptrIKfEEEENSB_INSC_IfEEEEfNS9_4plusIvEEfEEDaPvRmT3_T4_T5_mT6_P12ihipStream_tbENKUlT_T0_E_clISt17integral_constantIbLb1EESX_EEDaSS_ST_EUlSS_E0_NS1_11comp_targetILNS1_3genE8ELNS1_11target_archE1030ELNS1_3gpuE2ELNS1_3repE0EEENS1_30default_config_static_selectorELNS0_4arch9wavefront6targetE1EEEvT1_,comdat
	.protected	_ZN7rocprim17ROCPRIM_400000_NS6detail17trampoline_kernelINS0_14default_configENS1_20scan_config_selectorIfEEZZNS1_9scan_implILNS1_25lookback_scan_determinismE0ELb1ELb1ES3_N6thrust23THRUST_200600_302600_NS6detail15normal_iteratorINS9_10device_ptrIKfEEEENSB_INSC_IfEEEEfNS9_4plusIvEEfEEDaPvRmT3_T4_T5_mT6_P12ihipStream_tbENKUlT_T0_E_clISt17integral_constantIbLb1EESX_EEDaSS_ST_EUlSS_E0_NS1_11comp_targetILNS1_3genE8ELNS1_11target_archE1030ELNS1_3gpuE2ELNS1_3repE0EEENS1_30default_config_static_selectorELNS0_4arch9wavefront6targetE1EEEvT1_ ; -- Begin function _ZN7rocprim17ROCPRIM_400000_NS6detail17trampoline_kernelINS0_14default_configENS1_20scan_config_selectorIfEEZZNS1_9scan_implILNS1_25lookback_scan_determinismE0ELb1ELb1ES3_N6thrust23THRUST_200600_302600_NS6detail15normal_iteratorINS9_10device_ptrIKfEEEENSB_INSC_IfEEEEfNS9_4plusIvEEfEEDaPvRmT3_T4_T5_mT6_P12ihipStream_tbENKUlT_T0_E_clISt17integral_constantIbLb1EESX_EEDaSS_ST_EUlSS_E0_NS1_11comp_targetILNS1_3genE8ELNS1_11target_archE1030ELNS1_3gpuE2ELNS1_3repE0EEENS1_30default_config_static_selectorELNS0_4arch9wavefront6targetE1EEEvT1_
	.globl	_ZN7rocprim17ROCPRIM_400000_NS6detail17trampoline_kernelINS0_14default_configENS1_20scan_config_selectorIfEEZZNS1_9scan_implILNS1_25lookback_scan_determinismE0ELb1ELb1ES3_N6thrust23THRUST_200600_302600_NS6detail15normal_iteratorINS9_10device_ptrIKfEEEENSB_INSC_IfEEEEfNS9_4plusIvEEfEEDaPvRmT3_T4_T5_mT6_P12ihipStream_tbENKUlT_T0_E_clISt17integral_constantIbLb1EESX_EEDaSS_ST_EUlSS_E0_NS1_11comp_targetILNS1_3genE8ELNS1_11target_archE1030ELNS1_3gpuE2ELNS1_3repE0EEENS1_30default_config_static_selectorELNS0_4arch9wavefront6targetE1EEEvT1_
	.p2align	8
	.type	_ZN7rocprim17ROCPRIM_400000_NS6detail17trampoline_kernelINS0_14default_configENS1_20scan_config_selectorIfEEZZNS1_9scan_implILNS1_25lookback_scan_determinismE0ELb1ELb1ES3_N6thrust23THRUST_200600_302600_NS6detail15normal_iteratorINS9_10device_ptrIKfEEEENSB_INSC_IfEEEEfNS9_4plusIvEEfEEDaPvRmT3_T4_T5_mT6_P12ihipStream_tbENKUlT_T0_E_clISt17integral_constantIbLb1EESX_EEDaSS_ST_EUlSS_E0_NS1_11comp_targetILNS1_3genE8ELNS1_11target_archE1030ELNS1_3gpuE2ELNS1_3repE0EEENS1_30default_config_static_selectorELNS0_4arch9wavefront6targetE1EEEvT1_,@function
_ZN7rocprim17ROCPRIM_400000_NS6detail17trampoline_kernelINS0_14default_configENS1_20scan_config_selectorIfEEZZNS1_9scan_implILNS1_25lookback_scan_determinismE0ELb1ELb1ES3_N6thrust23THRUST_200600_302600_NS6detail15normal_iteratorINS9_10device_ptrIKfEEEENSB_INSC_IfEEEEfNS9_4plusIvEEfEEDaPvRmT3_T4_T5_mT6_P12ihipStream_tbENKUlT_T0_E_clISt17integral_constantIbLb1EESX_EEDaSS_ST_EUlSS_E0_NS1_11comp_targetILNS1_3genE8ELNS1_11target_archE1030ELNS1_3gpuE2ELNS1_3repE0EEENS1_30default_config_static_selectorELNS0_4arch9wavefront6targetE1EEEvT1_: ; @_ZN7rocprim17ROCPRIM_400000_NS6detail17trampoline_kernelINS0_14default_configENS1_20scan_config_selectorIfEEZZNS1_9scan_implILNS1_25lookback_scan_determinismE0ELb1ELb1ES3_N6thrust23THRUST_200600_302600_NS6detail15normal_iteratorINS9_10device_ptrIKfEEEENSB_INSC_IfEEEEfNS9_4plusIvEEfEEDaPvRmT3_T4_T5_mT6_P12ihipStream_tbENKUlT_T0_E_clISt17integral_constantIbLb1EESX_EEDaSS_ST_EUlSS_E0_NS1_11comp_targetILNS1_3genE8ELNS1_11target_archE1030ELNS1_3gpuE2ELNS1_3repE0EEENS1_30default_config_static_selectorELNS0_4arch9wavefront6targetE1EEEvT1_
; %bb.0:
	.section	.rodata,"a",@progbits
	.p2align	6, 0x0
	.amdhsa_kernel _ZN7rocprim17ROCPRIM_400000_NS6detail17trampoline_kernelINS0_14default_configENS1_20scan_config_selectorIfEEZZNS1_9scan_implILNS1_25lookback_scan_determinismE0ELb1ELb1ES3_N6thrust23THRUST_200600_302600_NS6detail15normal_iteratorINS9_10device_ptrIKfEEEENSB_INSC_IfEEEEfNS9_4plusIvEEfEEDaPvRmT3_T4_T5_mT6_P12ihipStream_tbENKUlT_T0_E_clISt17integral_constantIbLb1EESX_EEDaSS_ST_EUlSS_E0_NS1_11comp_targetILNS1_3genE8ELNS1_11target_archE1030ELNS1_3gpuE2ELNS1_3repE0EEENS1_30default_config_static_selectorELNS0_4arch9wavefront6targetE1EEEvT1_
		.amdhsa_group_segment_fixed_size 0
		.amdhsa_private_segment_fixed_size 0
		.amdhsa_kernarg_size 32
		.amdhsa_user_sgpr_count 2
		.amdhsa_user_sgpr_dispatch_ptr 0
		.amdhsa_user_sgpr_queue_ptr 0
		.amdhsa_user_sgpr_kernarg_segment_ptr 1
		.amdhsa_user_sgpr_dispatch_id 0
		.amdhsa_user_sgpr_kernarg_preload_length 0
		.amdhsa_user_sgpr_kernarg_preload_offset 0
		.amdhsa_user_sgpr_private_segment_size 0
		.amdhsa_uses_dynamic_stack 0
		.amdhsa_enable_private_segment 0
		.amdhsa_system_sgpr_workgroup_id_x 1
		.amdhsa_system_sgpr_workgroup_id_y 0
		.amdhsa_system_sgpr_workgroup_id_z 0
		.amdhsa_system_sgpr_workgroup_info 0
		.amdhsa_system_vgpr_workitem_id 0
		.amdhsa_next_free_vgpr 1
		.amdhsa_next_free_sgpr 0
		.amdhsa_accum_offset 4
		.amdhsa_reserve_vcc 0
		.amdhsa_float_round_mode_32 0
		.amdhsa_float_round_mode_16_64 0
		.amdhsa_float_denorm_mode_32 3
		.amdhsa_float_denorm_mode_16_64 3
		.amdhsa_dx10_clamp 1
		.amdhsa_ieee_mode 1
		.amdhsa_fp16_overflow 0
		.amdhsa_tg_split 0
		.amdhsa_exception_fp_ieee_invalid_op 0
		.amdhsa_exception_fp_denorm_src 0
		.amdhsa_exception_fp_ieee_div_zero 0
		.amdhsa_exception_fp_ieee_overflow 0
		.amdhsa_exception_fp_ieee_underflow 0
		.amdhsa_exception_fp_ieee_inexact 0
		.amdhsa_exception_int_div_zero 0
	.end_amdhsa_kernel
	.section	.text._ZN7rocprim17ROCPRIM_400000_NS6detail17trampoline_kernelINS0_14default_configENS1_20scan_config_selectorIfEEZZNS1_9scan_implILNS1_25lookback_scan_determinismE0ELb1ELb1ES3_N6thrust23THRUST_200600_302600_NS6detail15normal_iteratorINS9_10device_ptrIKfEEEENSB_INSC_IfEEEEfNS9_4plusIvEEfEEDaPvRmT3_T4_T5_mT6_P12ihipStream_tbENKUlT_T0_E_clISt17integral_constantIbLb1EESX_EEDaSS_ST_EUlSS_E0_NS1_11comp_targetILNS1_3genE8ELNS1_11target_archE1030ELNS1_3gpuE2ELNS1_3repE0EEENS1_30default_config_static_selectorELNS0_4arch9wavefront6targetE1EEEvT1_,"axG",@progbits,_ZN7rocprim17ROCPRIM_400000_NS6detail17trampoline_kernelINS0_14default_configENS1_20scan_config_selectorIfEEZZNS1_9scan_implILNS1_25lookback_scan_determinismE0ELb1ELb1ES3_N6thrust23THRUST_200600_302600_NS6detail15normal_iteratorINS9_10device_ptrIKfEEEENSB_INSC_IfEEEEfNS9_4plusIvEEfEEDaPvRmT3_T4_T5_mT6_P12ihipStream_tbENKUlT_T0_E_clISt17integral_constantIbLb1EESX_EEDaSS_ST_EUlSS_E0_NS1_11comp_targetILNS1_3genE8ELNS1_11target_archE1030ELNS1_3gpuE2ELNS1_3repE0EEENS1_30default_config_static_selectorELNS0_4arch9wavefront6targetE1EEEvT1_,comdat
.Lfunc_end46:
	.size	_ZN7rocprim17ROCPRIM_400000_NS6detail17trampoline_kernelINS0_14default_configENS1_20scan_config_selectorIfEEZZNS1_9scan_implILNS1_25lookback_scan_determinismE0ELb1ELb1ES3_N6thrust23THRUST_200600_302600_NS6detail15normal_iteratorINS9_10device_ptrIKfEEEENSB_INSC_IfEEEEfNS9_4plusIvEEfEEDaPvRmT3_T4_T5_mT6_P12ihipStream_tbENKUlT_T0_E_clISt17integral_constantIbLb1EESX_EEDaSS_ST_EUlSS_E0_NS1_11comp_targetILNS1_3genE8ELNS1_11target_archE1030ELNS1_3gpuE2ELNS1_3repE0EEENS1_30default_config_static_selectorELNS0_4arch9wavefront6targetE1EEEvT1_, .Lfunc_end46-_ZN7rocprim17ROCPRIM_400000_NS6detail17trampoline_kernelINS0_14default_configENS1_20scan_config_selectorIfEEZZNS1_9scan_implILNS1_25lookback_scan_determinismE0ELb1ELb1ES3_N6thrust23THRUST_200600_302600_NS6detail15normal_iteratorINS9_10device_ptrIKfEEEENSB_INSC_IfEEEEfNS9_4plusIvEEfEEDaPvRmT3_T4_T5_mT6_P12ihipStream_tbENKUlT_T0_E_clISt17integral_constantIbLb1EESX_EEDaSS_ST_EUlSS_E0_NS1_11comp_targetILNS1_3genE8ELNS1_11target_archE1030ELNS1_3gpuE2ELNS1_3repE0EEENS1_30default_config_static_selectorELNS0_4arch9wavefront6targetE1EEEvT1_
                                        ; -- End function
	.section	.AMDGPU.csdata,"",@progbits
; Kernel info:
; codeLenInByte = 0
; NumSgprs: 6
; NumVgprs: 0
; NumAgprs: 0
; TotalNumVgprs: 0
; ScratchSize: 0
; MemoryBound: 0
; FloatMode: 240
; IeeeMode: 1
; LDSByteSize: 0 bytes/workgroup (compile time only)
; SGPRBlocks: 0
; VGPRBlocks: 0
; NumSGPRsForWavesPerEU: 6
; NumVGPRsForWavesPerEU: 1
; AccumOffset: 4
; Occupancy: 8
; WaveLimiterHint : 0
; COMPUTE_PGM_RSRC2:SCRATCH_EN: 0
; COMPUTE_PGM_RSRC2:USER_SGPR: 2
; COMPUTE_PGM_RSRC2:TRAP_HANDLER: 0
; COMPUTE_PGM_RSRC2:TGID_X_EN: 1
; COMPUTE_PGM_RSRC2:TGID_Y_EN: 0
; COMPUTE_PGM_RSRC2:TGID_Z_EN: 0
; COMPUTE_PGM_RSRC2:TIDIG_COMP_CNT: 0
; COMPUTE_PGM_RSRC3_GFX90A:ACCUM_OFFSET: 0
; COMPUTE_PGM_RSRC3_GFX90A:TG_SPLIT: 0
	.section	.text._ZN7rocprim17ROCPRIM_400000_NS6detail31init_lookback_scan_state_kernelINS1_19lookback_scan_stateIfLb1ELb1EEENS1_16block_id_wrapperIjLb0EEEEEvT_jT0_jPNS7_10value_typeE,"axG",@progbits,_ZN7rocprim17ROCPRIM_400000_NS6detail31init_lookback_scan_state_kernelINS1_19lookback_scan_stateIfLb1ELb1EEENS1_16block_id_wrapperIjLb0EEEEEvT_jT0_jPNS7_10value_typeE,comdat
	.protected	_ZN7rocprim17ROCPRIM_400000_NS6detail31init_lookback_scan_state_kernelINS1_19lookback_scan_stateIfLb1ELb1EEENS1_16block_id_wrapperIjLb0EEEEEvT_jT0_jPNS7_10value_typeE ; -- Begin function _ZN7rocprim17ROCPRIM_400000_NS6detail31init_lookback_scan_state_kernelINS1_19lookback_scan_stateIfLb1ELb1EEENS1_16block_id_wrapperIjLb0EEEEEvT_jT0_jPNS7_10value_typeE
	.globl	_ZN7rocprim17ROCPRIM_400000_NS6detail31init_lookback_scan_state_kernelINS1_19lookback_scan_stateIfLb1ELb1EEENS1_16block_id_wrapperIjLb0EEEEEvT_jT0_jPNS7_10value_typeE
	.p2align	8
	.type	_ZN7rocprim17ROCPRIM_400000_NS6detail31init_lookback_scan_state_kernelINS1_19lookback_scan_stateIfLb1ELb1EEENS1_16block_id_wrapperIjLb0EEEEEvT_jT0_jPNS7_10value_typeE,@function
_ZN7rocprim17ROCPRIM_400000_NS6detail31init_lookback_scan_state_kernelINS1_19lookback_scan_stateIfLb1ELb1EEENS1_16block_id_wrapperIjLb0EEEEEvT_jT0_jPNS7_10value_typeE: ; @_ZN7rocprim17ROCPRIM_400000_NS6detail31init_lookback_scan_state_kernelINS1_19lookback_scan_stateIfLb1ELb1EEENS1_16block_id_wrapperIjLb0EEEEEvT_jT0_jPNS7_10value_typeE
; %bb.0:
	s_load_dword s3, s[0:1], 0x2c
	s_load_dwordx2 s[6:7], s[0:1], 0x18
	s_load_dwordx2 s[4:5], s[0:1], 0x0
	s_load_dword s8, s[0:1], 0x8
	s_waitcnt lgkmcnt(0)
	s_and_b32 s3, s3, 0xffff
	s_mul_i32 s2, s2, s3
	s_cmp_eq_u64 s[6:7], 0
	v_add_u32_e32 v0, s2, v0
	s_cbranch_scc1 .LBB47_9
; %bb.1:
	s_load_dword s2, s[0:1], 0x10
	s_mov_b32 s3, 0
	s_waitcnt lgkmcnt(0)
	s_cmp_lt_u32 s2, s8
	s_cselect_b32 s0, s2, 0
	v_cmp_eq_u32_e32 vcc, s0, v0
	s_and_saveexec_b64 s[0:1], vcc
	s_cbranch_execz .LBB47_8
; %bb.2:
	s_add_i32 s2, s2, 64
	s_lshl_b64 s[2:3], s[2:3], 3
	s_add_u32 s2, s4, s2
	s_addc_u32 s3, s5, s3
	v_mov_b32_e32 v2, 0
	global_load_dwordx2 v[4:5], v2, s[2:3] sc1
	s_waitcnt vmcnt(0)
	v_and_b32_e32 v3, 0xff, v5
	v_cmp_ne_u64_e32 vcc, 0, v[2:3]
	s_cbranch_vccnz .LBB47_7
; %bb.3:
	s_mov_b32 s9, 1
.LBB47_4:                               ; =>This Loop Header: Depth=1
                                        ;     Child Loop BB47_5 Depth 2
	s_max_u32 s10, s9, 1
.LBB47_5:                               ;   Parent Loop BB47_4 Depth=1
                                        ; =>  This Inner Loop Header: Depth=2
	s_add_i32 s10, s10, -1
	s_cmp_eq_u32 s10, 0
	s_sleep 1
	s_cbranch_scc0 .LBB47_5
; %bb.6:                                ;   in Loop: Header=BB47_4 Depth=1
	global_load_dwordx2 v[4:5], v2, s[2:3] sc1
	s_cmp_lt_u32 s9, 32
	s_cselect_b64 s[10:11], -1, 0
	s_cmp_lg_u64 s[10:11], 0
	s_addc_u32 s9, s9, 0
	s_waitcnt vmcnt(0)
	v_and_b32_e32 v3, 0xff, v5
	v_cmp_ne_u64_e32 vcc, 0, v[2:3]
	s_cbranch_vccz .LBB47_4
.LBB47_7:
	v_mov_b32_e32 v1, 0
	global_store_dword v1, v4, s[6:7]
.LBB47_8:
	s_or_b64 exec, exec, s[0:1]
.LBB47_9:
	v_cmp_gt_u32_e32 vcc, s8, v0
	s_and_saveexec_b64 s[0:1], vcc
	s_cbranch_execnz .LBB47_12
; %bb.10:
	s_or_b64 exec, exec, s[0:1]
	v_cmp_gt_u32_e32 vcc, 64, v0
	s_and_saveexec_b64 s[0:1], vcc
	s_cbranch_execnz .LBB47_13
.LBB47_11:
	s_endpgm
.LBB47_12:
	v_add_u32_e32 v2, 64, v0
	v_mov_b32_e32 v3, 0
	v_lshl_add_u64 v[4:5], v[2:3], 3, s[4:5]
	v_mov_b32_e32 v2, v3
	global_store_dwordx2 v[4:5], v[2:3], off
	s_or_b64 exec, exec, s[0:1]
	v_cmp_gt_u32_e32 vcc, 64, v0
	s_and_saveexec_b64 s[0:1], vcc
	s_cbranch_execz .LBB47_11
.LBB47_13:
	v_mov_b32_e32 v1, 0
	v_lshl_add_u64 v[2:3], v[0:1], 3, s[4:5]
	v_mov_b32_e32 v5, 0xff
	v_mov_b32_e32 v4, v1
	global_store_dwordx2 v[2:3], v[4:5], off
	s_endpgm
	.section	.rodata,"a",@progbits
	.p2align	6, 0x0
	.amdhsa_kernel _ZN7rocprim17ROCPRIM_400000_NS6detail31init_lookback_scan_state_kernelINS1_19lookback_scan_stateIfLb1ELb1EEENS1_16block_id_wrapperIjLb0EEEEEvT_jT0_jPNS7_10value_typeE
		.amdhsa_group_segment_fixed_size 0
		.amdhsa_private_segment_fixed_size 0
		.amdhsa_kernarg_size 288
		.amdhsa_user_sgpr_count 2
		.amdhsa_user_sgpr_dispatch_ptr 0
		.amdhsa_user_sgpr_queue_ptr 0
		.amdhsa_user_sgpr_kernarg_segment_ptr 1
		.amdhsa_user_sgpr_dispatch_id 0
		.amdhsa_user_sgpr_kernarg_preload_length 0
		.amdhsa_user_sgpr_kernarg_preload_offset 0
		.amdhsa_user_sgpr_private_segment_size 0
		.amdhsa_uses_dynamic_stack 0
		.amdhsa_enable_private_segment 0
		.amdhsa_system_sgpr_workgroup_id_x 1
		.amdhsa_system_sgpr_workgroup_id_y 0
		.amdhsa_system_sgpr_workgroup_id_z 0
		.amdhsa_system_sgpr_workgroup_info 0
		.amdhsa_system_vgpr_workitem_id 0
		.amdhsa_next_free_vgpr 6
		.amdhsa_next_free_sgpr 12
		.amdhsa_accum_offset 8
		.amdhsa_reserve_vcc 1
		.amdhsa_float_round_mode_32 0
		.amdhsa_float_round_mode_16_64 0
		.amdhsa_float_denorm_mode_32 3
		.amdhsa_float_denorm_mode_16_64 3
		.amdhsa_dx10_clamp 1
		.amdhsa_ieee_mode 1
		.amdhsa_fp16_overflow 0
		.amdhsa_tg_split 0
		.amdhsa_exception_fp_ieee_invalid_op 0
		.amdhsa_exception_fp_denorm_src 0
		.amdhsa_exception_fp_ieee_div_zero 0
		.amdhsa_exception_fp_ieee_overflow 0
		.amdhsa_exception_fp_ieee_underflow 0
		.amdhsa_exception_fp_ieee_inexact 0
		.amdhsa_exception_int_div_zero 0
	.end_amdhsa_kernel
	.section	.text._ZN7rocprim17ROCPRIM_400000_NS6detail31init_lookback_scan_state_kernelINS1_19lookback_scan_stateIfLb1ELb1EEENS1_16block_id_wrapperIjLb0EEEEEvT_jT0_jPNS7_10value_typeE,"axG",@progbits,_ZN7rocprim17ROCPRIM_400000_NS6detail31init_lookback_scan_state_kernelINS1_19lookback_scan_stateIfLb1ELb1EEENS1_16block_id_wrapperIjLb0EEEEEvT_jT0_jPNS7_10value_typeE,comdat
.Lfunc_end47:
	.size	_ZN7rocprim17ROCPRIM_400000_NS6detail31init_lookback_scan_state_kernelINS1_19lookback_scan_stateIfLb1ELb1EEENS1_16block_id_wrapperIjLb0EEEEEvT_jT0_jPNS7_10value_typeE, .Lfunc_end47-_ZN7rocprim17ROCPRIM_400000_NS6detail31init_lookback_scan_state_kernelINS1_19lookback_scan_stateIfLb1ELb1EEENS1_16block_id_wrapperIjLb0EEEEEvT_jT0_jPNS7_10value_typeE
                                        ; -- End function
	.section	.AMDGPU.csdata,"",@progbits
; Kernel info:
; codeLenInByte = 340
; NumSgprs: 18
; NumVgprs: 6
; NumAgprs: 0
; TotalNumVgprs: 6
; ScratchSize: 0
; MemoryBound: 0
; FloatMode: 240
; IeeeMode: 1
; LDSByteSize: 0 bytes/workgroup (compile time only)
; SGPRBlocks: 2
; VGPRBlocks: 0
; NumSGPRsForWavesPerEU: 18
; NumVGPRsForWavesPerEU: 6
; AccumOffset: 8
; Occupancy: 8
; WaveLimiterHint : 0
; COMPUTE_PGM_RSRC2:SCRATCH_EN: 0
; COMPUTE_PGM_RSRC2:USER_SGPR: 2
; COMPUTE_PGM_RSRC2:TRAP_HANDLER: 0
; COMPUTE_PGM_RSRC2:TGID_X_EN: 1
; COMPUTE_PGM_RSRC2:TGID_Y_EN: 0
; COMPUTE_PGM_RSRC2:TGID_Z_EN: 0
; COMPUTE_PGM_RSRC2:TIDIG_COMP_CNT: 0
; COMPUTE_PGM_RSRC3_GFX90A:ACCUM_OFFSET: 1
; COMPUTE_PGM_RSRC3_GFX90A:TG_SPLIT: 0
	.section	.text._ZN7rocprim17ROCPRIM_400000_NS6detail17trampoline_kernelINS0_14default_configENS1_20scan_config_selectorIfEEZZNS1_9scan_implILNS1_25lookback_scan_determinismE0ELb1ELb1ES3_N6thrust23THRUST_200600_302600_NS6detail15normal_iteratorINS9_10device_ptrIKfEEEENSB_INSC_IfEEEEfNS9_4plusIvEEfEEDaPvRmT3_T4_T5_mT6_P12ihipStream_tbENKUlT_T0_E_clISt17integral_constantIbLb1EESW_IbLb0EEEEDaSS_ST_EUlSS_E_NS1_11comp_targetILNS1_3genE0ELNS1_11target_archE4294967295ELNS1_3gpuE0ELNS1_3repE0EEENS1_30default_config_static_selectorELNS0_4arch9wavefront6targetE1EEEvT1_,"axG",@progbits,_ZN7rocprim17ROCPRIM_400000_NS6detail17trampoline_kernelINS0_14default_configENS1_20scan_config_selectorIfEEZZNS1_9scan_implILNS1_25lookback_scan_determinismE0ELb1ELb1ES3_N6thrust23THRUST_200600_302600_NS6detail15normal_iteratorINS9_10device_ptrIKfEEEENSB_INSC_IfEEEEfNS9_4plusIvEEfEEDaPvRmT3_T4_T5_mT6_P12ihipStream_tbENKUlT_T0_E_clISt17integral_constantIbLb1EESW_IbLb0EEEEDaSS_ST_EUlSS_E_NS1_11comp_targetILNS1_3genE0ELNS1_11target_archE4294967295ELNS1_3gpuE0ELNS1_3repE0EEENS1_30default_config_static_selectorELNS0_4arch9wavefront6targetE1EEEvT1_,comdat
	.protected	_ZN7rocprim17ROCPRIM_400000_NS6detail17trampoline_kernelINS0_14default_configENS1_20scan_config_selectorIfEEZZNS1_9scan_implILNS1_25lookback_scan_determinismE0ELb1ELb1ES3_N6thrust23THRUST_200600_302600_NS6detail15normal_iteratorINS9_10device_ptrIKfEEEENSB_INSC_IfEEEEfNS9_4plusIvEEfEEDaPvRmT3_T4_T5_mT6_P12ihipStream_tbENKUlT_T0_E_clISt17integral_constantIbLb1EESW_IbLb0EEEEDaSS_ST_EUlSS_E_NS1_11comp_targetILNS1_3genE0ELNS1_11target_archE4294967295ELNS1_3gpuE0ELNS1_3repE0EEENS1_30default_config_static_selectorELNS0_4arch9wavefront6targetE1EEEvT1_ ; -- Begin function _ZN7rocprim17ROCPRIM_400000_NS6detail17trampoline_kernelINS0_14default_configENS1_20scan_config_selectorIfEEZZNS1_9scan_implILNS1_25lookback_scan_determinismE0ELb1ELb1ES3_N6thrust23THRUST_200600_302600_NS6detail15normal_iteratorINS9_10device_ptrIKfEEEENSB_INSC_IfEEEEfNS9_4plusIvEEfEEDaPvRmT3_T4_T5_mT6_P12ihipStream_tbENKUlT_T0_E_clISt17integral_constantIbLb1EESW_IbLb0EEEEDaSS_ST_EUlSS_E_NS1_11comp_targetILNS1_3genE0ELNS1_11target_archE4294967295ELNS1_3gpuE0ELNS1_3repE0EEENS1_30default_config_static_selectorELNS0_4arch9wavefront6targetE1EEEvT1_
	.globl	_ZN7rocprim17ROCPRIM_400000_NS6detail17trampoline_kernelINS0_14default_configENS1_20scan_config_selectorIfEEZZNS1_9scan_implILNS1_25lookback_scan_determinismE0ELb1ELb1ES3_N6thrust23THRUST_200600_302600_NS6detail15normal_iteratorINS9_10device_ptrIKfEEEENSB_INSC_IfEEEEfNS9_4plusIvEEfEEDaPvRmT3_T4_T5_mT6_P12ihipStream_tbENKUlT_T0_E_clISt17integral_constantIbLb1EESW_IbLb0EEEEDaSS_ST_EUlSS_E_NS1_11comp_targetILNS1_3genE0ELNS1_11target_archE4294967295ELNS1_3gpuE0ELNS1_3repE0EEENS1_30default_config_static_selectorELNS0_4arch9wavefront6targetE1EEEvT1_
	.p2align	8
	.type	_ZN7rocprim17ROCPRIM_400000_NS6detail17trampoline_kernelINS0_14default_configENS1_20scan_config_selectorIfEEZZNS1_9scan_implILNS1_25lookback_scan_determinismE0ELb1ELb1ES3_N6thrust23THRUST_200600_302600_NS6detail15normal_iteratorINS9_10device_ptrIKfEEEENSB_INSC_IfEEEEfNS9_4plusIvEEfEEDaPvRmT3_T4_T5_mT6_P12ihipStream_tbENKUlT_T0_E_clISt17integral_constantIbLb1EESW_IbLb0EEEEDaSS_ST_EUlSS_E_NS1_11comp_targetILNS1_3genE0ELNS1_11target_archE4294967295ELNS1_3gpuE0ELNS1_3repE0EEENS1_30default_config_static_selectorELNS0_4arch9wavefront6targetE1EEEvT1_,@function
_ZN7rocprim17ROCPRIM_400000_NS6detail17trampoline_kernelINS0_14default_configENS1_20scan_config_selectorIfEEZZNS1_9scan_implILNS1_25lookback_scan_determinismE0ELb1ELb1ES3_N6thrust23THRUST_200600_302600_NS6detail15normal_iteratorINS9_10device_ptrIKfEEEENSB_INSC_IfEEEEfNS9_4plusIvEEfEEDaPvRmT3_T4_T5_mT6_P12ihipStream_tbENKUlT_T0_E_clISt17integral_constantIbLb1EESW_IbLb0EEEEDaSS_ST_EUlSS_E_NS1_11comp_targetILNS1_3genE0ELNS1_11target_archE4294967295ELNS1_3gpuE0ELNS1_3repE0EEENS1_30default_config_static_selectorELNS0_4arch9wavefront6targetE1EEEvT1_: ; @_ZN7rocprim17ROCPRIM_400000_NS6detail17trampoline_kernelINS0_14default_configENS1_20scan_config_selectorIfEEZZNS1_9scan_implILNS1_25lookback_scan_determinismE0ELb1ELb1ES3_N6thrust23THRUST_200600_302600_NS6detail15normal_iteratorINS9_10device_ptrIKfEEEENSB_INSC_IfEEEEfNS9_4plusIvEEfEEDaPvRmT3_T4_T5_mT6_P12ihipStream_tbENKUlT_T0_E_clISt17integral_constantIbLb1EESW_IbLb0EEEEDaSS_ST_EUlSS_E_NS1_11comp_targetILNS1_3genE0ELNS1_11target_archE4294967295ELNS1_3gpuE0ELNS1_3repE0EEENS1_30default_config_static_selectorELNS0_4arch9wavefront6targetE1EEEvT1_
; %bb.0:
	.section	.rodata,"a",@progbits
	.p2align	6, 0x0
	.amdhsa_kernel _ZN7rocprim17ROCPRIM_400000_NS6detail17trampoline_kernelINS0_14default_configENS1_20scan_config_selectorIfEEZZNS1_9scan_implILNS1_25lookback_scan_determinismE0ELb1ELb1ES3_N6thrust23THRUST_200600_302600_NS6detail15normal_iteratorINS9_10device_ptrIKfEEEENSB_INSC_IfEEEEfNS9_4plusIvEEfEEDaPvRmT3_T4_T5_mT6_P12ihipStream_tbENKUlT_T0_E_clISt17integral_constantIbLb1EESW_IbLb0EEEEDaSS_ST_EUlSS_E_NS1_11comp_targetILNS1_3genE0ELNS1_11target_archE4294967295ELNS1_3gpuE0ELNS1_3repE0EEENS1_30default_config_static_selectorELNS0_4arch9wavefront6targetE1EEEvT1_
		.amdhsa_group_segment_fixed_size 0
		.amdhsa_private_segment_fixed_size 0
		.amdhsa_kernarg_size 96
		.amdhsa_user_sgpr_count 2
		.amdhsa_user_sgpr_dispatch_ptr 0
		.amdhsa_user_sgpr_queue_ptr 0
		.amdhsa_user_sgpr_kernarg_segment_ptr 1
		.amdhsa_user_sgpr_dispatch_id 0
		.amdhsa_user_sgpr_kernarg_preload_length 0
		.amdhsa_user_sgpr_kernarg_preload_offset 0
		.amdhsa_user_sgpr_private_segment_size 0
		.amdhsa_uses_dynamic_stack 0
		.amdhsa_enable_private_segment 0
		.amdhsa_system_sgpr_workgroup_id_x 1
		.amdhsa_system_sgpr_workgroup_id_y 0
		.amdhsa_system_sgpr_workgroup_id_z 0
		.amdhsa_system_sgpr_workgroup_info 0
		.amdhsa_system_vgpr_workitem_id 0
		.amdhsa_next_free_vgpr 1
		.amdhsa_next_free_sgpr 0
		.amdhsa_accum_offset 4
		.amdhsa_reserve_vcc 0
		.amdhsa_float_round_mode_32 0
		.amdhsa_float_round_mode_16_64 0
		.amdhsa_float_denorm_mode_32 3
		.amdhsa_float_denorm_mode_16_64 3
		.amdhsa_dx10_clamp 1
		.amdhsa_ieee_mode 1
		.amdhsa_fp16_overflow 0
		.amdhsa_tg_split 0
		.amdhsa_exception_fp_ieee_invalid_op 0
		.amdhsa_exception_fp_denorm_src 0
		.amdhsa_exception_fp_ieee_div_zero 0
		.amdhsa_exception_fp_ieee_overflow 0
		.amdhsa_exception_fp_ieee_underflow 0
		.amdhsa_exception_fp_ieee_inexact 0
		.amdhsa_exception_int_div_zero 0
	.end_amdhsa_kernel
	.section	.text._ZN7rocprim17ROCPRIM_400000_NS6detail17trampoline_kernelINS0_14default_configENS1_20scan_config_selectorIfEEZZNS1_9scan_implILNS1_25lookback_scan_determinismE0ELb1ELb1ES3_N6thrust23THRUST_200600_302600_NS6detail15normal_iteratorINS9_10device_ptrIKfEEEENSB_INSC_IfEEEEfNS9_4plusIvEEfEEDaPvRmT3_T4_T5_mT6_P12ihipStream_tbENKUlT_T0_E_clISt17integral_constantIbLb1EESW_IbLb0EEEEDaSS_ST_EUlSS_E_NS1_11comp_targetILNS1_3genE0ELNS1_11target_archE4294967295ELNS1_3gpuE0ELNS1_3repE0EEENS1_30default_config_static_selectorELNS0_4arch9wavefront6targetE1EEEvT1_,"axG",@progbits,_ZN7rocprim17ROCPRIM_400000_NS6detail17trampoline_kernelINS0_14default_configENS1_20scan_config_selectorIfEEZZNS1_9scan_implILNS1_25lookback_scan_determinismE0ELb1ELb1ES3_N6thrust23THRUST_200600_302600_NS6detail15normal_iteratorINS9_10device_ptrIKfEEEENSB_INSC_IfEEEEfNS9_4plusIvEEfEEDaPvRmT3_T4_T5_mT6_P12ihipStream_tbENKUlT_T0_E_clISt17integral_constantIbLb1EESW_IbLb0EEEEDaSS_ST_EUlSS_E_NS1_11comp_targetILNS1_3genE0ELNS1_11target_archE4294967295ELNS1_3gpuE0ELNS1_3repE0EEENS1_30default_config_static_selectorELNS0_4arch9wavefront6targetE1EEEvT1_,comdat
.Lfunc_end48:
	.size	_ZN7rocprim17ROCPRIM_400000_NS6detail17trampoline_kernelINS0_14default_configENS1_20scan_config_selectorIfEEZZNS1_9scan_implILNS1_25lookback_scan_determinismE0ELb1ELb1ES3_N6thrust23THRUST_200600_302600_NS6detail15normal_iteratorINS9_10device_ptrIKfEEEENSB_INSC_IfEEEEfNS9_4plusIvEEfEEDaPvRmT3_T4_T5_mT6_P12ihipStream_tbENKUlT_T0_E_clISt17integral_constantIbLb1EESW_IbLb0EEEEDaSS_ST_EUlSS_E_NS1_11comp_targetILNS1_3genE0ELNS1_11target_archE4294967295ELNS1_3gpuE0ELNS1_3repE0EEENS1_30default_config_static_selectorELNS0_4arch9wavefront6targetE1EEEvT1_, .Lfunc_end48-_ZN7rocprim17ROCPRIM_400000_NS6detail17trampoline_kernelINS0_14default_configENS1_20scan_config_selectorIfEEZZNS1_9scan_implILNS1_25lookback_scan_determinismE0ELb1ELb1ES3_N6thrust23THRUST_200600_302600_NS6detail15normal_iteratorINS9_10device_ptrIKfEEEENSB_INSC_IfEEEEfNS9_4plusIvEEfEEDaPvRmT3_T4_T5_mT6_P12ihipStream_tbENKUlT_T0_E_clISt17integral_constantIbLb1EESW_IbLb0EEEEDaSS_ST_EUlSS_E_NS1_11comp_targetILNS1_3genE0ELNS1_11target_archE4294967295ELNS1_3gpuE0ELNS1_3repE0EEENS1_30default_config_static_selectorELNS0_4arch9wavefront6targetE1EEEvT1_
                                        ; -- End function
	.section	.AMDGPU.csdata,"",@progbits
; Kernel info:
; codeLenInByte = 0
; NumSgprs: 6
; NumVgprs: 0
; NumAgprs: 0
; TotalNumVgprs: 0
; ScratchSize: 0
; MemoryBound: 0
; FloatMode: 240
; IeeeMode: 1
; LDSByteSize: 0 bytes/workgroup (compile time only)
; SGPRBlocks: 0
; VGPRBlocks: 0
; NumSGPRsForWavesPerEU: 6
; NumVGPRsForWavesPerEU: 1
; AccumOffset: 4
; Occupancy: 8
; WaveLimiterHint : 0
; COMPUTE_PGM_RSRC2:SCRATCH_EN: 0
; COMPUTE_PGM_RSRC2:USER_SGPR: 2
; COMPUTE_PGM_RSRC2:TRAP_HANDLER: 0
; COMPUTE_PGM_RSRC2:TGID_X_EN: 1
; COMPUTE_PGM_RSRC2:TGID_Y_EN: 0
; COMPUTE_PGM_RSRC2:TGID_Z_EN: 0
; COMPUTE_PGM_RSRC2:TIDIG_COMP_CNT: 0
; COMPUTE_PGM_RSRC3_GFX90A:ACCUM_OFFSET: 0
; COMPUTE_PGM_RSRC3_GFX90A:TG_SPLIT: 0
	.section	.text._ZN7rocprim17ROCPRIM_400000_NS6detail17trampoline_kernelINS0_14default_configENS1_20scan_config_selectorIfEEZZNS1_9scan_implILNS1_25lookback_scan_determinismE0ELb1ELb1ES3_N6thrust23THRUST_200600_302600_NS6detail15normal_iteratorINS9_10device_ptrIKfEEEENSB_INSC_IfEEEEfNS9_4plusIvEEfEEDaPvRmT3_T4_T5_mT6_P12ihipStream_tbENKUlT_T0_E_clISt17integral_constantIbLb1EESW_IbLb0EEEEDaSS_ST_EUlSS_E_NS1_11comp_targetILNS1_3genE5ELNS1_11target_archE942ELNS1_3gpuE9ELNS1_3repE0EEENS1_30default_config_static_selectorELNS0_4arch9wavefront6targetE1EEEvT1_,"axG",@progbits,_ZN7rocprim17ROCPRIM_400000_NS6detail17trampoline_kernelINS0_14default_configENS1_20scan_config_selectorIfEEZZNS1_9scan_implILNS1_25lookback_scan_determinismE0ELb1ELb1ES3_N6thrust23THRUST_200600_302600_NS6detail15normal_iteratorINS9_10device_ptrIKfEEEENSB_INSC_IfEEEEfNS9_4plusIvEEfEEDaPvRmT3_T4_T5_mT6_P12ihipStream_tbENKUlT_T0_E_clISt17integral_constantIbLb1EESW_IbLb0EEEEDaSS_ST_EUlSS_E_NS1_11comp_targetILNS1_3genE5ELNS1_11target_archE942ELNS1_3gpuE9ELNS1_3repE0EEENS1_30default_config_static_selectorELNS0_4arch9wavefront6targetE1EEEvT1_,comdat
	.protected	_ZN7rocprim17ROCPRIM_400000_NS6detail17trampoline_kernelINS0_14default_configENS1_20scan_config_selectorIfEEZZNS1_9scan_implILNS1_25lookback_scan_determinismE0ELb1ELb1ES3_N6thrust23THRUST_200600_302600_NS6detail15normal_iteratorINS9_10device_ptrIKfEEEENSB_INSC_IfEEEEfNS9_4plusIvEEfEEDaPvRmT3_T4_T5_mT6_P12ihipStream_tbENKUlT_T0_E_clISt17integral_constantIbLb1EESW_IbLb0EEEEDaSS_ST_EUlSS_E_NS1_11comp_targetILNS1_3genE5ELNS1_11target_archE942ELNS1_3gpuE9ELNS1_3repE0EEENS1_30default_config_static_selectorELNS0_4arch9wavefront6targetE1EEEvT1_ ; -- Begin function _ZN7rocprim17ROCPRIM_400000_NS6detail17trampoline_kernelINS0_14default_configENS1_20scan_config_selectorIfEEZZNS1_9scan_implILNS1_25lookback_scan_determinismE0ELb1ELb1ES3_N6thrust23THRUST_200600_302600_NS6detail15normal_iteratorINS9_10device_ptrIKfEEEENSB_INSC_IfEEEEfNS9_4plusIvEEfEEDaPvRmT3_T4_T5_mT6_P12ihipStream_tbENKUlT_T0_E_clISt17integral_constantIbLb1EESW_IbLb0EEEEDaSS_ST_EUlSS_E_NS1_11comp_targetILNS1_3genE5ELNS1_11target_archE942ELNS1_3gpuE9ELNS1_3repE0EEENS1_30default_config_static_selectorELNS0_4arch9wavefront6targetE1EEEvT1_
	.globl	_ZN7rocprim17ROCPRIM_400000_NS6detail17trampoline_kernelINS0_14default_configENS1_20scan_config_selectorIfEEZZNS1_9scan_implILNS1_25lookback_scan_determinismE0ELb1ELb1ES3_N6thrust23THRUST_200600_302600_NS6detail15normal_iteratorINS9_10device_ptrIKfEEEENSB_INSC_IfEEEEfNS9_4plusIvEEfEEDaPvRmT3_T4_T5_mT6_P12ihipStream_tbENKUlT_T0_E_clISt17integral_constantIbLb1EESW_IbLb0EEEEDaSS_ST_EUlSS_E_NS1_11comp_targetILNS1_3genE5ELNS1_11target_archE942ELNS1_3gpuE9ELNS1_3repE0EEENS1_30default_config_static_selectorELNS0_4arch9wavefront6targetE1EEEvT1_
	.p2align	8
	.type	_ZN7rocprim17ROCPRIM_400000_NS6detail17trampoline_kernelINS0_14default_configENS1_20scan_config_selectorIfEEZZNS1_9scan_implILNS1_25lookback_scan_determinismE0ELb1ELb1ES3_N6thrust23THRUST_200600_302600_NS6detail15normal_iteratorINS9_10device_ptrIKfEEEENSB_INSC_IfEEEEfNS9_4plusIvEEfEEDaPvRmT3_T4_T5_mT6_P12ihipStream_tbENKUlT_T0_E_clISt17integral_constantIbLb1EESW_IbLb0EEEEDaSS_ST_EUlSS_E_NS1_11comp_targetILNS1_3genE5ELNS1_11target_archE942ELNS1_3gpuE9ELNS1_3repE0EEENS1_30default_config_static_selectorELNS0_4arch9wavefront6targetE1EEEvT1_,@function
_ZN7rocprim17ROCPRIM_400000_NS6detail17trampoline_kernelINS0_14default_configENS1_20scan_config_selectorIfEEZZNS1_9scan_implILNS1_25lookback_scan_determinismE0ELb1ELb1ES3_N6thrust23THRUST_200600_302600_NS6detail15normal_iteratorINS9_10device_ptrIKfEEEENSB_INSC_IfEEEEfNS9_4plusIvEEfEEDaPvRmT3_T4_T5_mT6_P12ihipStream_tbENKUlT_T0_E_clISt17integral_constantIbLb1EESW_IbLb0EEEEDaSS_ST_EUlSS_E_NS1_11comp_targetILNS1_3genE5ELNS1_11target_archE942ELNS1_3gpuE9ELNS1_3repE0EEENS1_30default_config_static_selectorELNS0_4arch9wavefront6targetE1EEEvT1_: ; @_ZN7rocprim17ROCPRIM_400000_NS6detail17trampoline_kernelINS0_14default_configENS1_20scan_config_selectorIfEEZZNS1_9scan_implILNS1_25lookback_scan_determinismE0ELb1ELb1ES3_N6thrust23THRUST_200600_302600_NS6detail15normal_iteratorINS9_10device_ptrIKfEEEENSB_INSC_IfEEEEfNS9_4plusIvEEfEEDaPvRmT3_T4_T5_mT6_P12ihipStream_tbENKUlT_T0_E_clISt17integral_constantIbLb1EESW_IbLb0EEEEDaSS_ST_EUlSS_E_NS1_11comp_targetILNS1_3genE5ELNS1_11target_archE942ELNS1_3gpuE9ELNS1_3repE0EEENS1_30default_config_static_selectorELNS0_4arch9wavefront6targetE1EEEvT1_
; %bb.0:
	s_load_dwordx8 s[12:19], s[0:1], 0x0
	s_load_dword s3, s[0:1], 0x30
	s_mul_i32 s4, s2, 0x1800
	s_mov_b32 s5, 0
	v_lshlrev_b32_e32 v30, 2, v0
	s_waitcnt lgkmcnt(0)
	s_lshl_b64 s[22:23], s[14:15], 2
	s_add_u32 s30, s12, s22
	s_addc_u32 s31, s13, s23
	s_add_i32 s3, s3, -1
	s_mul_i32 s6, s3, 0x1800
	s_sub_u32 s28, s18, s6
	s_subb_u32 s29, s19, 0
	s_cmp_lg_u32 s2, s3
	s_cselect_b64 s[18:19], -1, 0
	s_lshl_b64 s[20:21], s[4:5], 2
	s_add_u32 s6, s30, s20
	s_addc_u32 s7, s31, s21
	s_mov_b64 s[4:5], -1
	s_and_b64 vcc, exec, s[18:19]
	s_cbranch_vccz .LBB49_2
; %bb.1:
	v_mov_b32_e32 v31, 0
	v_lshl_add_u64 v[2:3], s[6:7], 0, v[30:31]
	v_add_co_u32_e32 v4, vcc, 0x1000, v2
	s_mov_b64 s[4:5], 0
	s_nop 0
	v_addc_co_u32_e32 v5, vcc, 0, v3, vcc
	flat_load_dword v1, v[2:3]
	flat_load_dword v8, v[2:3] offset:1024
	flat_load_dword v9, v[2:3] offset:2048
	;; [unrolled: 1-line block ×3, first 2 shown]
	flat_load_dword v11, v[4:5]
	flat_load_dword v12, v[4:5] offset:1024
	flat_load_dword v13, v[4:5] offset:2048
	flat_load_dword v14, v[4:5] offset:3072
	v_add_co_u32_e32 v4, vcc, 0x2000, v2
	s_nop 1
	v_addc_co_u32_e32 v5, vcc, 0, v3, vcc
	v_add_co_u32_e32 v6, vcc, 0x3000, v2
	s_nop 1
	v_addc_co_u32_e32 v7, vcc, 0, v3, vcc
	flat_load_dword v15, v[4:5]
	flat_load_dword v16, v[4:5] offset:1024
	flat_load_dword v17, v[4:5] offset:2048
	;; [unrolled: 1-line block ×3, first 2 shown]
	flat_load_dword v19, v[6:7]
	flat_load_dword v20, v[6:7] offset:1024
	flat_load_dword v21, v[6:7] offset:2048
	;; [unrolled: 1-line block ×3, first 2 shown]
	v_add_co_u32_e32 v4, vcc, 0x4000, v2
	s_nop 1
	v_addc_co_u32_e32 v5, vcc, 0, v3, vcc
	v_add_co_u32_e32 v2, vcc, 0x5000, v2
	s_nop 1
	v_addc_co_u32_e32 v3, vcc, 0, v3, vcc
	flat_load_dword v6, v[4:5]
	flat_load_dword v7, v[4:5] offset:1024
	flat_load_dword v23, v[4:5] offset:2048
	;; [unrolled: 1-line block ×3, first 2 shown]
	flat_load_dword v25, v[2:3]
	flat_load_dword v26, v[2:3] offset:1024
	flat_load_dword v27, v[2:3] offset:2048
	;; [unrolled: 1-line block ×3, first 2 shown]
	s_waitcnt vmcnt(0) lgkmcnt(0)
	ds_write2st64_b32 v30, v1, v8 offset1:4
	ds_write2st64_b32 v30, v9, v10 offset0:8 offset1:12
	ds_write2st64_b32 v30, v11, v12 offset0:16 offset1:20
	ds_write2st64_b32 v30, v13, v14 offset0:24 offset1:28
	ds_write2st64_b32 v30, v15, v16 offset0:32 offset1:36
	ds_write2st64_b32 v30, v17, v18 offset0:40 offset1:44
	ds_write2st64_b32 v30, v19, v20 offset0:48 offset1:52
	ds_write2st64_b32 v30, v21, v22 offset0:56 offset1:60
	ds_write2st64_b32 v30, v6, v7 offset0:64 offset1:68
	ds_write2st64_b32 v30, v23, v24 offset0:72 offset1:76
	ds_write2st64_b32 v30, v25, v26 offset0:80 offset1:84
	ds_write2st64_b32 v30, v27, v28 offset0:88 offset1:92
	s_waitcnt lgkmcnt(0)
	s_barrier
.LBB49_2:
	s_load_dwordx2 s[24:25], s[0:1], 0x28
	s_andn2_b64 vcc, exec, s[4:5]
	v_cmp_gt_u32_e64 s[4:5], s28, v0
	s_cbranch_vccnz .LBB49_52
; %bb.3:
	v_mov_b64_e32 v[2:3], s[6:7]
	flat_load_dword v1, v[2:3]
	s_waitcnt vmcnt(0) lgkmcnt(0)
	v_mov_b32_e32 v2, v1
	s_and_saveexec_b64 s[8:9], s[4:5]
	s_cbranch_execz .LBB49_5
; %bb.4:
	v_mov_b32_e32 v31, 0
	v_lshl_add_u64 v[2:3], s[6:7], 0, v[30:31]
	flat_load_dword v2, v[2:3]
.LBB49_5:
	s_or_b64 exec, exec, s[8:9]
	v_or_b32_e32 v3, 0x100, v0
	v_cmp_gt_u32_e32 vcc, s28, v3
	v_mov_b32_e32 v3, v1
	s_and_saveexec_b64 s[4:5], vcc
	s_cbranch_execz .LBB49_7
; %bb.6:
	v_mov_b32_e32 v31, 0
	v_lshl_add_u64 v[4:5], s[6:7], 0, v[30:31]
	flat_load_dword v3, v[4:5] offset:1024
.LBB49_7:
	s_or_b64 exec, exec, s[4:5]
	v_or_b32_e32 v4, 0x200, v0
	v_cmp_gt_u32_e32 vcc, s28, v4
	v_mov_b32_e32 v4, v1
	s_and_saveexec_b64 s[4:5], vcc
	s_cbranch_execz .LBB49_9
; %bb.8:
	v_mov_b32_e32 v31, 0
	v_lshl_add_u64 v[4:5], s[6:7], 0, v[30:31]
	flat_load_dword v4, v[4:5] offset:2048
.LBB49_9:
	;; [unrolled: 11-line block ×3, first 2 shown]
	s_or_b64 exec, exec, s[4:5]
	v_or_b32_e32 v7, 0x400, v0
	v_cmp_gt_u32_e32 vcc, s28, v7
	v_mov_b32_e32 v6, v1
	s_and_saveexec_b64 s[4:5], vcc
	s_cbranch_execz .LBB49_13
; %bb.12:
	v_lshlrev_b32_e32 v6, 2, v7
	v_mov_b32_e32 v7, 0
	v_lshl_add_u64 v[6:7], s[6:7], 0, v[6:7]
	flat_load_dword v6, v[6:7]
.LBB49_13:
	s_or_b64 exec, exec, s[4:5]
	v_or_b32_e32 v8, 0x500, v0
	v_cmp_gt_u32_e32 vcc, s28, v8
	v_mov_b32_e32 v7, v1
	s_and_saveexec_b64 s[4:5], vcc
	s_cbranch_execz .LBB49_15
; %bb.14:
	v_lshlrev_b32_e32 v8, 2, v8
	v_mov_b32_e32 v9, 0
	v_lshl_add_u64 v[8:9], s[6:7], 0, v[8:9]
	flat_load_dword v7, v[8:9]
.LBB49_15:
	;; [unrolled: 12-line block ×19, first 2 shown]
	s_or_b64 exec, exec, s[4:5]
	v_or_b32_e32 v25, 0x1700, v0
	v_cmp_gt_u32_e32 vcc, s28, v25
	s_and_saveexec_b64 s[4:5], vcc
	s_cbranch_execz .LBB49_51
; %bb.50:
	v_lshlrev_b32_e32 v26, 2, v25
	v_mov_b32_e32 v27, 0
	v_lshl_add_u64 v[26:27], s[6:7], 0, v[26:27]
	flat_load_dword v1, v[26:27]
.LBB49_51:
	s_or_b64 exec, exec, s[4:5]
	s_waitcnt vmcnt(0) lgkmcnt(0)
	ds_write2st64_b32 v30, v2, v3 offset1:4
	ds_write2st64_b32 v30, v4, v5 offset0:8 offset1:12
	ds_write2st64_b32 v30, v6, v7 offset0:16 offset1:20
	;; [unrolled: 1-line block ×11, first 2 shown]
	s_waitcnt lgkmcnt(0)
	s_barrier
.LBB49_52:
	v_mul_u32_u24_e32 v38, 24, v0
	v_lshlrev_b32_e32 v1, 2, v38
	s_waitcnt lgkmcnt(0)
	ds_read_b128 v[22:25], v1
	ds_read_b128 v[18:21], v1 offset:16
	ds_read_b128 v[14:17], v1 offset:32
	;; [unrolled: 1-line block ×5, first 2 shown]
	s_waitcnt lgkmcnt(5)
	v_add_f32_e32 v26, v22, v23
	s_cmp_lg_u32 s2, 0
	v_add_f32_e32 v39, v26, v24
	v_lshrrev_b32_e32 v31, 5, v0
	v_cmp_gt_u32_e32 vcc, 64, v0
	s_waitcnt lgkmcnt(0)
	s_barrier
	s_cbranch_scc0 .LBB49_81
; %bb.53:
	v_add_f32_e32 v26, v39, v25
	v_add_f32_e32 v26, v26, v18
	v_add_f32_e32 v26, v26, v19
	v_add_f32_e32 v26, v26, v20
	v_add_f32_e32 v26, v26, v21
	v_add_f32_e32 v26, v26, v14
	v_add_f32_e32 v26, v26, v15
	v_add_f32_e32 v26, v26, v16
	v_add_f32_e32 v26, v26, v17
	v_add_f32_e32 v26, v26, v10
	v_add_f32_e32 v26, v26, v11
	v_add_f32_e32 v26, v26, v12
	v_add_f32_e32 v26, v26, v13
	v_add_f32_e32 v26, v26, v6
	v_add_f32_e32 v26, v26, v7
	v_add_f32_e32 v26, v26, v8
	v_add_f32_e32 v26, v26, v9
	v_add_f32_e32 v26, v26, v2
	v_add_f32_e32 v26, v26, v3
	v_add_f32_e32 v26, v26, v4
	v_add_f32_e32 v40, v26, v5
	v_add_lshl_u32 v26, v31, v0, 2
	ds_write_b32 v26, v40
	s_waitcnt lgkmcnt(0)
	s_barrier
	s_and_saveexec_b64 s[10:11], vcc
	s_cbranch_execz .LBB49_55
; %bb.54:
	v_lshrrev_b32_e32 v26, 3, v0
	v_add_lshl_u32 v32, v26, v30, 2
	ds_read2_b32 v[26:27], v32 offset1:1
	ds_read2_b32 v[28:29], v32 offset0:2 offset1:3
	v_mbcnt_lo_u32_b32 v33, -1, 0
	v_mbcnt_hi_u32_b32 v33, -1, v33
	v_and_b32_e32 v34, 15, v33
	s_waitcnt lgkmcnt(1)
	v_add_f32_e32 v27, v26, v27
	s_waitcnt lgkmcnt(0)
	v_add_f32_e32 v27, v27, v28
	v_add_f32_e32 v27, v27, v29
	v_cmp_eq_u32_e64 s[4:5], 0, v34
	v_cmp_lt_u32_e64 s[6:7], 3, v34
	v_mov_b32_dpp v28, v27 row_shr:1 row_mask:0xf bank_mask:0xf
	v_add_f32_e32 v28, v27, v28
	v_cndmask_b32_e64 v27, v28, v27, s[4:5]
	v_cmp_lt_u32_e64 s[4:5], 1, v34
	v_cmp_lt_u32_e64 s[8:9], 31, v33
	v_mov_b32_dpp v28, v27 row_shr:2 row_mask:0xf bank_mask:0xf
	v_add_f32_e32 v28, v27, v28
	v_cndmask_b32_e64 v28, v27, v28, s[4:5]
	; wave barrier
	s_nop 1
	v_mov_b32_dpp v29, v28 row_shr:4 row_mask:0xf bank_mask:0xf
	v_add_f32_e32 v29, v28, v29
	v_cndmask_b32_e64 v28, v28, v29, s[6:7]
	v_cmp_lt_u32_e64 s[6:7], 7, v34
	v_and_b32_e32 v34, 16, v33
	v_mov_b32_dpp v29, v28 row_shr:8 row_mask:0xf bank_mask:0xf
	v_add_f32_e32 v29, v28, v29
	v_cndmask_b32_e64 v28, v28, v29, s[6:7]
	v_cmp_eq_u32_e64 s[6:7], 0, v34
	s_nop 0
	v_mov_b32_dpp v29, v28 row_bcast:15 row_mask:0xf bank_mask:0xf
	v_add_f32_e32 v29, v28, v29
	v_cndmask_b32_e64 v28, v29, v28, s[6:7]
	v_cmp_lt_u32_e64 s[6:7], 15, v33
	s_or_b64 s[4:5], s[6:7], s[4:5]
	v_mov_b32_dpp v29, v28 row_bcast:31 row_mask:0xf bank_mask:0xf
	v_add_f32_e32 v29, v28, v29
	v_cndmask_b32_e64 v28, v28, v29, s[8:9]
	v_cndmask_b32_e64 v27, v27, v28, s[4:5]
	v_add_u32_e32 v28, -1, v33
	v_and_b32_e32 v29, 64, v33
	v_cmp_lt_i32_e64 s[4:5], v28, v29
	s_nop 1
	v_cndmask_b32_e64 v28, v28, v33, s[4:5]
	v_lshlrev_b32_e32 v28, 2, v28
	ds_bpermute_b32 v27, v28, v27
	v_cmp_eq_u32_e64 s[4:5], 0, v0
	s_waitcnt lgkmcnt(0)
	v_add_f32_e32 v26, v26, v27
	v_cndmask_b32_e64 v28, v26, v40, s[4:5]
	ds_write_b32 v32, v28
	; wave barrier
	ds_read2_b32 v[26:27], v32 offset0:1 offset1:2
	ds_read_b32 v29, v32 offset:12
	s_waitcnt lgkmcnt(1)
	v_add_f32_e32 v26, v28, v26
	v_add_f32_e32 v27, v26, v27
	ds_write2_b32 v32, v26, v27 offset0:1 offset1:2
	s_waitcnt lgkmcnt(1)
	v_add_f32_e32 v26, v27, v29
	ds_write_b32 v32, v26 offset:12
.LBB49_55:
	s_or_b64 exec, exec, s[10:11]
	v_cmp_eq_u32_e64 s[6:7], 0, v0
	v_cmp_ne_u32_e64 s[4:5], 0, v0
	s_waitcnt lgkmcnt(0)
	s_barrier
	s_and_saveexec_b64 s[8:9], s[4:5]
	s_cbranch_execz .LBB49_57
; %bb.56:
	v_add_u32_e32 v26, -1, v0
	v_lshrrev_b32_e32 v27, 5, v26
	v_add_lshl_u32 v26, v27, v26, 2
	ds_read_b32 v40, v26
.LBB49_57:
	s_or_b64 exec, exec, s[8:9]
	s_and_saveexec_b64 s[26:27], vcc
	s_cbranch_execz .LBB49_80
; %bb.58:
	v_mov_b32_e32 v37, 0
	ds_read_b32 v26, v37 offset:1048
	v_mbcnt_lo_u32_b32 v27, -1, 0
	v_mbcnt_hi_u32_b32 v29, -1, v27
	s_mov_b32 s11, 0
	v_cmp_eq_u32_e64 s[4:5], 0, v29
	s_and_saveexec_b64 s[8:9], s[4:5]
	s_cbranch_execz .LBB49_60
; %bb.59:
	s_add_i32 s10, s2, 64
	s_lshl_b64 s[10:11], s[10:11], 3
	s_add_u32 s10, s24, s10
	v_mov_b32_e32 v27, 1
	s_addc_u32 s11, s25, s11
	s_waitcnt lgkmcnt(0)
	global_store_dwordx2 v37, v[26:27], s[10:11] sc1
.LBB49_60:
	s_or_b64 exec, exec, s[8:9]
	v_xad_u32 v28, v29, -1, s2
	v_add_u32_e32 v36, 64, v28
	v_lshl_add_u64 v[32:33], v[36:37], 3, s[24:25]
	global_load_dwordx2 v[34:35], v[32:33], off sc1
	s_waitcnt vmcnt(0)
	v_cmp_eq_u16_sdwa s[10:11], v35, v37 src0_sel:BYTE_0 src1_sel:DWORD
	s_and_saveexec_b64 s[8:9], s[10:11]
	s_cbranch_execz .LBB49_66
; %bb.61:
	s_mov_b32 s3, 1
	s_mov_b64 s[10:11], 0
	v_mov_b32_e32 v27, 0
.LBB49_62:                              ; =>This Loop Header: Depth=1
                                        ;     Child Loop BB49_63 Depth 2
	s_max_u32 s12, s3, 1
.LBB49_63:                              ;   Parent Loop BB49_62 Depth=1
                                        ; =>  This Inner Loop Header: Depth=2
	s_add_i32 s12, s12, -1
	s_cmp_eq_u32 s12, 0
	s_sleep 1
	s_cbranch_scc0 .LBB49_63
; %bb.64:                               ;   in Loop: Header=BB49_62 Depth=1
	global_load_dwordx2 v[34:35], v[32:33], off sc1
	s_cmp_lt_u32 s3, 32
	s_cselect_b64 s[12:13], -1, 0
	s_cmp_lg_u64 s[12:13], 0
	s_addc_u32 s3, s3, 0
	s_waitcnt vmcnt(0)
	v_cmp_ne_u16_sdwa s[12:13], v35, v27 src0_sel:BYTE_0 src1_sel:DWORD
	s_or_b64 s[10:11], s[12:13], s[10:11]
	s_andn2_b64 exec, exec, s[10:11]
	s_cbranch_execnz .LBB49_62
; %bb.65:
	s_or_b64 exec, exec, s[10:11]
.LBB49_66:
	s_or_b64 exec, exec, s[8:9]
	v_and_b32_e32 v41, 63, v29
	v_cmp_ne_u32_e32 vcc, 63, v41
	v_mov_b32_e32 v27, 2
	v_cmp_eq_u16_sdwa s[8:9], v35, v27 src0_sel:BYTE_0 src1_sel:DWORD
	v_addc_co_u32_e32 v42, vcc, 0, v29, vcc
	v_lshlrev_b32_e32 v42, 2, v42
	v_lshlrev_b64 v[32:33], v29, -1
	ds_bpermute_b32 v43, v42, v34
	v_and_b32_e32 v36, s9, v33
	v_or_b32_e32 v36, 0x80000000, v36
	v_and_b32_e32 v37, s8, v32
	v_ffbl_b32_e32 v36, v36
	v_add_u32_e32 v36, 32, v36
	v_ffbl_b32_e32 v37, v37
	v_cmp_gt_u32_e64 s[8:9], 62, v41
	v_min_u32_e32 v36, v37, v36
	s_waitcnt lgkmcnt(0)
	v_add_f32_e32 v37, v34, v43
	v_cndmask_b32_e64 v43, 0, 1, s[8:9]
	v_cmp_lt_u32_e32 vcc, v41, v36
	v_lshlrev_b32_e32 v43, 1, v43
	v_add_lshl_u32 v43, v43, v29, 2
	v_cndmask_b32_e32 v37, v34, v37, vcc
	ds_bpermute_b32 v45, v43, v37
	v_add_u32_e32 v44, 2, v41
	v_cmp_gt_u32_e64 s[8:9], v44, v36
	v_cmp_gt_u32_e64 s[10:11], 56, v41
	v_add_u32_e32 v46, 4, v41
	s_waitcnt lgkmcnt(0)
	v_add_f32_e32 v45, v37, v45
	v_cndmask_b32_e64 v37, v45, v37, s[8:9]
	v_cmp_gt_u32_e64 s[8:9], 60, v41
	v_add_u32_e32 v48, 8, v41
	v_cmp_gt_u32_e64 s[12:13], 48, v41
	v_cndmask_b32_e64 v45, 0, 1, s[8:9]
	v_lshlrev_b32_e32 v45, 2, v45
	v_add_lshl_u32 v45, v45, v29, 2
	ds_bpermute_b32 v47, v45, v37
	v_cmp_gt_u32_e64 s[8:9], v46, v36
	v_cmp_gt_u32_e64 s[14:15], 32, v41
	v_cndmask_b32_e32 v34, v34, v37, vcc
	s_waitcnt lgkmcnt(0)
	v_add_f32_e32 v51, v37, v47
	v_cndmask_b32_e64 v47, 0, 1, s[10:11]
	v_lshlrev_b32_e32 v47, 3, v47
	v_cndmask_b32_e64 v49, v51, v37, s[8:9]
	v_add_lshl_u32 v47, v47, v29, 2
	ds_bpermute_b32 v50, v47, v49
	v_cmp_gt_u32_e64 s[10:11], v48, v36
	v_cndmask_b32_e64 v34, v51, v34, s[8:9]
	s_waitcnt lgkmcnt(0)
	v_add_f32_e32 v54, v49, v50
	v_cndmask_b32_e64 v52, v54, v49, s[10:11]
	v_cndmask_b32_e64 v49, 0, 1, s[12:13]
	v_lshlrev_b32_e32 v49, 4, v49
	v_add_lshl_u32 v49, v49, v29, 2
	ds_bpermute_b32 v53, v49, v52
	v_add_u32_e32 v50, 16, v41
	v_cmp_gt_u32_e64 s[12:13], v50, v36
	v_cndmask_b32_e64 v34, v54, v34, s[10:11]
	s_waitcnt lgkmcnt(0)
	v_add_f32_e32 v55, v52, v53
	v_cndmask_b32_e64 v56, v55, v52, s[12:13]
	v_cndmask_b32_e64 v52, 0, 1, s[14:15]
	v_lshlrev_b32_e32 v52, 5, v52
	v_add_lshl_u32 v52, v52, v29, 2
	ds_bpermute_b32 v29, v52, v56
	v_add_u32_e32 v53, 32, v41
	v_cndmask_b32_e64 v34, v55, v34, s[12:13]
	v_cmp_gt_u32_e32 vcc, v53, v36
	s_waitcnt lgkmcnt(0)
	v_add_f32_e32 v29, v56, v29
	v_cndmask_b32_e32 v34, v29, v34, vcc
	v_mov_b32_e32 v29, 0
	s_branch .LBB49_68
.LBB49_67:                              ;   in Loop: Header=BB49_68 Depth=1
	s_or_b64 exec, exec, s[8:9]
	v_cmp_eq_u16_sdwa s[8:9], v35, v27 src0_sel:BYTE_0 src1_sel:DWORD
	ds_bpermute_b32 v54, v42, v34
	v_subrev_u32_e32 v28, 64, v28
	v_and_b32_e32 v36, s9, v33
	v_or_b32_e32 v36, 0x80000000, v36
	v_and_b32_e32 v37, s8, v32
	v_ffbl_b32_e32 v36, v36
	v_add_u32_e32 v36, 32, v36
	v_ffbl_b32_e32 v37, v37
	v_min_u32_e32 v36, v37, v36
	s_waitcnt lgkmcnt(0)
	v_add_f32_e32 v37, v34, v54
	v_cmp_lt_u32_e32 vcc, v41, v36
	v_cmp_gt_u32_e64 s[8:9], v44, v36
	v_cmp_gt_u32_e64 s[10:11], v48, v36
	v_cndmask_b32_e32 v37, v34, v37, vcc
	ds_bpermute_b32 v54, v43, v37
	v_cmp_gt_u32_e64 s[12:13], v50, v36
	s_waitcnt lgkmcnt(0)
	v_add_f32_e32 v54, v37, v54
	v_cndmask_b32_e64 v37, v54, v37, s[8:9]
	ds_bpermute_b32 v54, v45, v37
	v_cmp_gt_u32_e64 s[8:9], v46, v36
	v_cndmask_b32_e32 v34, v34, v37, vcc
	v_cmp_gt_u32_e32 vcc, v53, v36
	s_waitcnt lgkmcnt(0)
	v_add_f32_e32 v54, v37, v54
	v_cndmask_b32_e64 v55, v54, v37, s[8:9]
	ds_bpermute_b32 v56, v47, v55
	v_cndmask_b32_e64 v34, v54, v34, s[8:9]
	s_waitcnt lgkmcnt(0)
	v_add_f32_e32 v56, v55, v56
	v_cndmask_b32_e64 v55, v56, v55, s[10:11]
	ds_bpermute_b32 v57, v49, v55
	v_cndmask_b32_e64 v34, v56, v34, s[10:11]
	s_waitcnt lgkmcnt(0)
	v_add_f32_e32 v57, v55, v57
	v_cndmask_b32_e64 v55, v57, v55, s[12:13]
	ds_bpermute_b32 v58, v52, v55
	v_cndmask_b32_e64 v34, v57, v34, s[12:13]
	s_waitcnt lgkmcnt(0)
	v_add_f32_e32 v37, v55, v58
	v_cndmask_b32_e32 v34, v37, v34, vcc
	v_add_f32_e32 v34, v51, v34
.LBB49_68:                              ; =>This Loop Header: Depth=1
                                        ;     Child Loop BB49_71 Depth 2
                                        ;       Child Loop BB49_72 Depth 3
	v_cmp_ne_u16_sdwa s[8:9], v35, v27 src0_sel:BYTE_0 src1_sel:DWORD
	v_mov_b32_e32 v51, v34
	s_nop 0
	v_cndmask_b32_e64 v35, 0, 1, s[8:9]
	;;#ASMSTART
	;;#ASMEND
	s_nop 0
	v_cmp_ne_u32_e32 vcc, 0, v35
	s_cmp_lg_u64 vcc, exec
	s_cbranch_scc1 .LBB49_75
; %bb.69:                               ;   in Loop: Header=BB49_68 Depth=1
	v_lshl_add_u64 v[36:37], v[28:29], 3, s[24:25]
	global_load_dwordx2 v[34:35], v[36:37], off sc1
	s_waitcnt vmcnt(0)
	v_cmp_eq_u16_sdwa s[10:11], v35, v29 src0_sel:BYTE_0 src1_sel:DWORD
	s_and_saveexec_b64 s[8:9], s[10:11]
	s_cbranch_execz .LBB49_67
; %bb.70:                               ;   in Loop: Header=BB49_68 Depth=1
	s_mov_b32 s3, 1
	s_mov_b64 s[10:11], 0
.LBB49_71:                              ;   Parent Loop BB49_68 Depth=1
                                        ; =>  This Loop Header: Depth=2
                                        ;       Child Loop BB49_72 Depth 3
	s_max_u32 s12, s3, 1
.LBB49_72:                              ;   Parent Loop BB49_68 Depth=1
                                        ;     Parent Loop BB49_71 Depth=2
                                        ; =>    This Inner Loop Header: Depth=3
	s_add_i32 s12, s12, -1
	s_cmp_eq_u32 s12, 0
	s_sleep 1
	s_cbranch_scc0 .LBB49_72
; %bb.73:                               ;   in Loop: Header=BB49_71 Depth=2
	global_load_dwordx2 v[34:35], v[36:37], off sc1
	s_cmp_lt_u32 s3, 32
	s_cselect_b64 s[12:13], -1, 0
	s_cmp_lg_u64 s[12:13], 0
	s_addc_u32 s3, s3, 0
	s_waitcnt vmcnt(0)
	v_cmp_ne_u16_sdwa s[12:13], v35, v29 src0_sel:BYTE_0 src1_sel:DWORD
	s_or_b64 s[10:11], s[12:13], s[10:11]
	s_andn2_b64 exec, exec, s[10:11]
	s_cbranch_execnz .LBB49_71
; %bb.74:                               ;   in Loop: Header=BB49_68 Depth=1
	s_or_b64 exec, exec, s[10:11]
	s_branch .LBB49_67
.LBB49_75:                              ;   in Loop: Header=BB49_68 Depth=1
                                        ; implicit-def: $vgpr34
                                        ; implicit-def: $vgpr35
	s_cbranch_execz .LBB49_68
; %bb.76:
	s_and_saveexec_b64 s[8:9], s[4:5]
	s_cbranch_execz .LBB49_78
; %bb.77:
	s_add_i32 s2, s2, 64
	s_mov_b32 s3, 0
	s_lshl_b64 s[2:3], s[2:3], 3
	s_add_u32 s2, s24, s2
	v_add_f32_e32 v26, v26, v51
	v_mov_b32_e32 v27, 2
	s_addc_u32 s3, s25, s3
	v_mov_b32_e32 v28, 0
	global_store_dwordx2 v28, v[26:27], s[2:3] sc1
.LBB49_78:
	s_or_b64 exec, exec, s[8:9]
	s_and_b64 exec, exec, s[6:7]
	s_cbranch_execz .LBB49_80
; %bb.79:
	v_mov_b32_e32 v26, 0
	ds_write_b32 v26, v51
.LBB49_80:
	s_or_b64 exec, exec, s[26:27]
	v_mov_b32_e32 v26, 0
	s_waitcnt lgkmcnt(0)
	s_barrier
	ds_read_b32 v26, v26
	s_waitcnt lgkmcnt(0)
	v_add_f32_e32 v27, v40, v26
	v_cndmask_b32_e64 v26, v27, v26, s[6:7]
	s_load_dwordx8 s[4:11], s[0:1], 0x38
	s_branch .LBB49_91
.LBB49_81:
                                        ; implicit-def: $vgpr26
	s_load_dwordx8 s[4:11], s[0:1], 0x38
	s_cbranch_execz .LBB49_91
; %bb.82:
	s_load_dword s0, s[0:1], 0x20
	s_waitcnt lgkmcnt(0)
	s_cmp_eq_u64 s[8:9], 0
	v_mov_b32_e32 v27, s0
	s_cbranch_scc1 .LBB49_84
; %bb.83:
	v_mov_b32_e32 v27, s31
	v_add_co_u32_e64 v26, vcc, -4, s30
	v_mov_b32_e32 v28, 0
	s_nop 0
	v_addc_co_u32_e32 v27, vcc, -1, v27, vcc
	flat_load_dword v29, v[26:27]
	global_load_dword v32, v28, s[4:5]
	s_waitcnt vmcnt(0) lgkmcnt(0)
	v_add_f32_e32 v27, v29, v32
.LBB49_84:
	v_add_f32_e32 v26, v39, v25
	v_add_f32_e32 v26, v26, v18
	;; [unrolled: 1-line block ×21, first 2 shown]
	v_add_lshl_u32 v26, v31, v0, 2
	v_cmp_gt_u32_e32 vcc, 64, v0
	ds_write_b32 v26, v5
	s_waitcnt lgkmcnt(0)
	s_barrier
	s_and_saveexec_b64 s[4:5], vcc
	s_cbranch_execz .LBB49_86
; %bb.85:
	v_lshrrev_b32_e32 v26, 3, v0
	v_add_lshl_u32 v26, v26, v30, 2
	ds_read2_b32 v[28:29], v26 offset1:1
	ds_read2_b32 v[32:33], v26 offset0:2 offset1:3
	v_mbcnt_lo_u32_b32 v31, -1, 0
	v_mbcnt_hi_u32_b32 v31, -1, v31
	v_and_b32_e32 v34, 15, v31
	s_waitcnt lgkmcnt(1)
	v_add_f32_e32 v29, v28, v29
	s_waitcnt lgkmcnt(0)
	v_add_f32_e32 v29, v29, v32
	v_add_f32_e32 v29, v29, v33
	v_cmp_eq_u32_e32 vcc, 0, v34
	v_cmp_lt_u32_e64 s[0:1], 3, v34
	v_mov_b32_dpp v32, v29 row_shr:1 row_mask:0xf bank_mask:0xf
	v_add_f32_e32 v32, v29, v32
	v_cndmask_b32_e32 v29, v32, v29, vcc
	v_cmp_lt_u32_e32 vcc, 1, v34
	v_cmp_lt_u32_e64 s[2:3], 31, v31
	v_mov_b32_dpp v32, v29 row_shr:2 row_mask:0xf bank_mask:0xf
	v_add_f32_e32 v32, v29, v32
	v_cndmask_b32_e32 v32, v29, v32, vcc
	; wave barrier
	s_nop 1
	v_mov_b32_dpp v33, v32 row_shr:4 row_mask:0xf bank_mask:0xf
	v_add_f32_e32 v33, v32, v33
	v_cndmask_b32_e64 v32, v32, v33, s[0:1]
	v_cmp_lt_u32_e64 s[0:1], 7, v34
	v_and_b32_e32 v34, 16, v31
	v_mov_b32_dpp v33, v32 row_shr:8 row_mask:0xf bank_mask:0xf
	v_add_f32_e32 v33, v32, v33
	v_cndmask_b32_e64 v32, v32, v33, s[0:1]
	v_cmp_eq_u32_e64 s[0:1], 0, v34
	s_nop 0
	v_mov_b32_dpp v33, v32 row_bcast:15 row_mask:0xf bank_mask:0xf
	v_add_f32_e32 v33, v32, v33
	v_cndmask_b32_e64 v32, v33, v32, s[0:1]
	v_cmp_lt_u32_e64 s[0:1], 15, v31
	s_or_b64 vcc, s[0:1], vcc
	v_mov_b32_dpp v33, v32 row_bcast:31 row_mask:0xf bank_mask:0xf
	v_add_f32_e32 v33, v32, v33
	v_cndmask_b32_e64 v32, v32, v33, s[2:3]
	v_cndmask_b32_e32 v29, v29, v32, vcc
	v_add_u32_e32 v32, -1, v31
	v_and_b32_e32 v33, 64, v31
	v_cmp_lt_i32_e32 vcc, v32, v33
	s_nop 1
	v_cndmask_b32_e32 v31, v32, v31, vcc
	v_lshlrev_b32_e32 v31, 2, v31
	ds_bpermute_b32 v29, v31, v29
	v_cmp_eq_u32_e32 vcc, 0, v0
	s_waitcnt lgkmcnt(0)
	v_add_f32_e32 v28, v28, v29
	v_cndmask_b32_e32 v5, v28, v5, vcc
	ds_write_b32 v26, v5
	; wave barrier
	ds_read2_b32 v[28:29], v26 offset0:1 offset1:2
	ds_read_b32 v31, v26 offset:12
	s_waitcnt lgkmcnt(1)
	v_add_f32_e32 v5, v5, v28
	v_add_f32_e32 v28, v5, v29
	ds_write2_b32 v26, v5, v28 offset0:1 offset1:2
	s_waitcnt lgkmcnt(1)
	v_add_f32_e32 v5, v28, v31
	ds_write_b32 v26, v5 offset:12
.LBB49_86:
	s_or_b64 exec, exec, s[4:5]
	v_cmp_eq_u32_e32 vcc, 0, v0
	v_cmp_ne_u32_e64 s[0:1], 0, v0
	v_mov_b32_e32 v26, v27
	s_waitcnt lgkmcnt(0)
	s_barrier
	s_and_saveexec_b64 s[2:3], s[0:1]
	s_cbranch_execz .LBB49_88
; %bb.87:
	v_add_u32_e32 v5, -1, v0
	v_lshrrev_b32_e32 v26, 5, v5
	v_add_lshl_u32 v5, v26, v5, 2
	ds_read_b32 v5, v5
	s_waitcnt lgkmcnt(0)
	v_add_f32_e32 v26, v27, v5
.LBB49_88:
	s_or_b64 exec, exec, s[2:3]
	s_and_saveexec_b64 s[0:1], vcc
	s_cbranch_execz .LBB49_90
; %bb.89:
	v_mov_b32_e32 v5, 0
	ds_read_b32 v28, v5 offset:1048
	v_mov_b32_e32 v29, 2
	s_waitcnt lgkmcnt(0)
	v_add_f32_e32 v28, v27, v28
	global_store_dwordx2 v5, v[28:29], s[24:25] offset:512 sc1
.LBB49_90:
	s_or_b64 exec, exec, s[0:1]
.LBB49_91:
	v_add_f32_e32 v27, v22, v26
	v_add_f32_e32 v28, v23, v27
	;; [unrolled: 1-line block ×19, first 2 shown]
	s_add_u32 s0, s16, s22
	v_add_f32_e32 v6, v9, v13
	s_addc_u32 s1, s17, s23
	v_add_f32_e32 v7, v2, v6
	v_add_f32_e32 v8, v3, v7
	s_add_u32 s0, s0, s20
	v_add_f32_e32 v9, v4, v8
	s_addc_u32 s1, s1, s21
	s_mov_b64 s[2:3], -1
	s_and_b64 vcc, exec, s[18:19]
	s_waitcnt lgkmcnt(0)
	s_barrier
	s_cbranch_vccz .LBB49_93
; %bb.92:
	v_mov_b32_e32 v31, 0
	ds_write_b128 v1, v[26:29]
	ds_write_b128 v1, v[22:25] offset:16
	ds_write_b128 v1, v[18:21] offset:32
	;; [unrolled: 1-line block ×5, first 2 shown]
	s_waitcnt lgkmcnt(0)
	s_barrier
	ds_read2st64_b32 v[2:3], v30 offset1:4
	ds_read2st64_b32 v[4:5], v30 offset0:8 offset1:12
	ds_read2st64_b32 v[32:33], v30 offset0:16 offset1:20
	;; [unrolled: 1-line block ×11, first 2 shown]
	v_lshl_add_u64 v[54:55], s[0:1], 0, v[30:31]
	s_movk_i32 s2, 0x1000
	s_waitcnt lgkmcnt(11)
	flat_store_dword v[54:55], v2
	flat_store_dword v[54:55], v3 offset:1024
	s_waitcnt lgkmcnt(0)
	flat_store_dword v[54:55], v4 offset:2048
	flat_store_dword v[54:55], v5 offset:3072
	v_add_co_u32_e32 v2, vcc, s2, v54
	s_movk_i32 s2, 0x2000
	s_nop 0
	v_addc_co_u32_e32 v3, vcc, 0, v55, vcc
	flat_store_dword v[2:3], v32
	flat_store_dword v[2:3], v33 offset:1024
	flat_store_dword v[2:3], v34 offset:2048
	flat_store_dword v[2:3], v35 offset:3072
	v_add_co_u32_e32 v2, vcc, s2, v54
	s_movk_i32 s2, 0x3000
	s_nop 0
	v_addc_co_u32_e32 v3, vcc, 0, v55, vcc
	flat_store_dword v[2:3], v36
	flat_store_dword v[2:3], v37 offset:1024
	;; [unrolled: 8-line block ×3, first 2 shown]
	flat_store_dword v[2:3], v44 offset:2048
	flat_store_dword v[2:3], v45 offset:3072
	v_add_co_u32_e32 v2, vcc, s2, v54
	s_mov_b64 s[2:3], 0
	s_nop 0
	v_addc_co_u32_e32 v3, vcc, 0, v55, vcc
	flat_store_dword v[2:3], v46
	flat_store_dword v[2:3], v47 offset:1024
	flat_store_dword v[2:3], v48 offset:2048
	;; [unrolled: 1-line block ×3, first 2 shown]
	v_add_co_u32_e32 v2, vcc, 0x5000, v54
	s_nop 1
	v_addc_co_u32_e32 v3, vcc, 0, v55, vcc
	flat_store_dword v[2:3], v50
	flat_store_dword v[2:3], v51 offset:1024
	flat_store_dword v[2:3], v52 offset:2048
	;; [unrolled: 1-line block ×3, first 2 shown]
.LBB49_93:
	s_andn2_b64 vcc, exec, s[2:3]
	s_cbranch_vccnz .LBB49_150
; %bb.94:
	s_movk_i32 s2, 0xffa4
	ds_write_b128 v1, v[26:29]
	ds_write_b128 v1, v[22:25] offset:16
	ds_write_b128 v1, v[18:21] offset:32
	;; [unrolled: 1-line block ×5, first 2 shown]
	v_mad_i32_i24 v1, v0, s2, v1
	s_waitcnt lgkmcnt(0)
	s_barrier
	ds_read2st64_b32 v[2:3], v1 offset1:4
	ds_read2st64_b32 v[4:5], v1 offset0:8 offset1:12
	ds_read2st64_b32 v[6:7], v1 offset0:16 offset1:20
	;; [unrolled: 1-line block ×11, first 2 shown]
	v_mov_b32_e32 v31, 0
	v_lshl_add_u64 v[26:27], s[0:1], 0, v[30:31]
	v_cmp_gt_u32_e32 vcc, s28, v0
	s_and_saveexec_b64 s[0:1], vcc
	s_cbranch_execz .LBB49_96
; %bb.95:
	s_waitcnt lgkmcnt(0)
	flat_store_dword v[26:27], v2
.LBB49_96:
	s_or_b64 exec, exec, s[0:1]
	v_or_b32_e32 v1, 0x100, v0
	v_cmp_gt_u32_e32 vcc, s28, v1
	s_and_saveexec_b64 s[0:1], vcc
	s_cbranch_execz .LBB49_98
; %bb.97:
	s_waitcnt lgkmcnt(0)
	flat_store_dword v[26:27], v3 offset:1024
.LBB49_98:
	s_or_b64 exec, exec, s[0:1]
	v_or_b32_e32 v1, 0x200, v0
	v_cmp_gt_u32_e32 vcc, s28, v1
	s_and_saveexec_b64 s[0:1], vcc
	s_cbranch_execz .LBB49_100
; %bb.99:
	s_waitcnt lgkmcnt(0)
	flat_store_dword v[26:27], v4 offset:2048
.LBB49_100:
	;; [unrolled: 9-line block ×3, first 2 shown]
	s_or_b64 exec, exec, s[0:1]
	v_or_b32_e32 v1, 0x400, v0
	v_cmp_gt_u32_e32 vcc, s28, v1
	s_and_saveexec_b64 s[0:1], vcc
	s_cbranch_execz .LBB49_104
; %bb.103:
	v_add_co_u32_e32 v28, vcc, 0x1000, v26
	s_nop 1
	v_addc_co_u32_e32 v29, vcc, 0, v27, vcc
	s_waitcnt lgkmcnt(0)
	flat_store_dword v[28:29], v6
.LBB49_104:
	s_or_b64 exec, exec, s[0:1]
	v_or_b32_e32 v1, 0x500, v0
	v_cmp_gt_u32_e32 vcc, s28, v1
	s_and_saveexec_b64 s[0:1], vcc
	s_cbranch_execz .LBB49_106
; %bb.105:
	v_add_co_u32_e32 v28, vcc, 0x1000, v26
	s_nop 1
	v_addc_co_u32_e32 v29, vcc, 0, v27, vcc
	s_waitcnt lgkmcnt(0)
	flat_store_dword v[28:29], v7 offset:1024
.LBB49_106:
	s_or_b64 exec, exec, s[0:1]
	v_or_b32_e32 v1, 0x600, v0
	v_cmp_gt_u32_e32 vcc, s28, v1
	s_and_saveexec_b64 s[0:1], vcc
	s_cbranch_execz .LBB49_108
; %bb.107:
	v_add_co_u32_e32 v28, vcc, 0x1000, v26
	s_nop 1
	v_addc_co_u32_e32 v29, vcc, 0, v27, vcc
	s_waitcnt lgkmcnt(0)
	flat_store_dword v[28:29], v16 offset:2048
.LBB49_108:
	s_or_b64 exec, exec, s[0:1]
	v_or_b32_e32 v1, 0x700, v0
	v_cmp_gt_u32_e32 vcc, s28, v1
	s_and_saveexec_b64 s[0:1], vcc
	s_cbranch_execz .LBB49_110
; %bb.109:
	v_add_co_u32_e32 v28, vcc, 0x1000, v26
	s_nop 1
	v_addc_co_u32_e32 v29, vcc, 0, v27, vcc
	s_waitcnt lgkmcnt(0)
	flat_store_dword v[28:29], v17 offset:3072
.LBB49_110:
	s_or_b64 exec, exec, s[0:1]
	v_or_b32_e32 v1, 0x800, v0
	v_cmp_gt_u32_e32 vcc, s28, v1
	s_and_saveexec_b64 s[0:1], vcc
	s_cbranch_execz .LBB49_112
; %bb.111:
	v_add_co_u32_e32 v28, vcc, 0x2000, v26
	s_nop 1
	v_addc_co_u32_e32 v29, vcc, 0, v27, vcc
	s_waitcnt lgkmcnt(0)
	flat_store_dword v[28:29], v14
.LBB49_112:
	s_or_b64 exec, exec, s[0:1]
	v_or_b32_e32 v1, 0x900, v0
	v_cmp_gt_u32_e32 vcc, s28, v1
	s_and_saveexec_b64 s[0:1], vcc
	s_cbranch_execz .LBB49_114
; %bb.113:
	v_add_co_u32_e32 v28, vcc, 0x2000, v26
	s_nop 1
	v_addc_co_u32_e32 v29, vcc, 0, v27, vcc
	s_waitcnt lgkmcnt(0)
	flat_store_dword v[28:29], v15 offset:1024
.LBB49_114:
	s_or_b64 exec, exec, s[0:1]
	v_or_b32_e32 v1, 0xa00, v0
	v_cmp_gt_u32_e32 vcc, s28, v1
	s_and_saveexec_b64 s[0:1], vcc
	s_cbranch_execz .LBB49_116
; %bb.115:
	v_add_co_u32_e32 v28, vcc, 0x2000, v26
	s_nop 1
	v_addc_co_u32_e32 v29, vcc, 0, v27, vcc
	s_waitcnt lgkmcnt(0)
	flat_store_dword v[28:29], v18 offset:2048
.LBB49_116:
	s_or_b64 exec, exec, s[0:1]
	v_or_b32_e32 v1, 0xb00, v0
	v_cmp_gt_u32_e32 vcc, s28, v1
	s_and_saveexec_b64 s[0:1], vcc
	s_cbranch_execz .LBB49_118
; %bb.117:
	v_add_co_u32_e32 v28, vcc, 0x2000, v26
	s_nop 1
	v_addc_co_u32_e32 v29, vcc, 0, v27, vcc
	s_waitcnt lgkmcnt(0)
	flat_store_dword v[28:29], v19 offset:3072
.LBB49_118:
	;; [unrolled: 48-line block ×5, first 2 shown]
	s_or_b64 exec, exec, s[0:1]
	v_cmp_lt_u64_e64 s[0:1], s[10:11], 2
	s_and_b64 vcc, exec, s[0:1]
	s_cbranch_vccnz .LBB49_150
; %bb.143:
	s_add_u32 s0, s28, -1
	s_addc_u32 s1, s29, -1
	s_add_u32 s2, 0, 0xaaaa0000
	s_addc_u32 s3, 0, 42
	s_add_i32 s3, s3, 0xaaaaa80
	s_mul_hi_u32 s9, s2, 0xffffffe8
	s_sub_i32 s9, s9, s2
	s_mul_i32 s10, s3, 0xffffffe8
	s_mul_i32 s4, s2, 0xffffffe8
	s_add_i32 s9, s9, s10
	s_mul_hi_u32 s5, s3, s4
	s_mul_i32 s8, s3, s4
	s_mul_i32 s11, s2, s9
	s_mul_hi_u32 s4, s2, s4
	s_mul_hi_u32 s10, s2, s9
	s_add_u32 s4, s4, s11
	s_addc_u32 s10, 0, s10
	s_add_u32 s4, s4, s8
	s_mul_hi_u32 s11, s3, s9
	s_addc_u32 s4, s10, s5
	s_addc_u32 s5, s11, 0
	s_mul_i32 s8, s3, s9
	s_add_u32 s4, s4, s8
	v_mov_b32_e32 v26, s4
	s_addc_u32 s5, 0, s5
	v_add_co_u32_e32 v26, vcc, s2, v26
	s_cmp_lg_u64 vcc, 0
	s_addc_u32 s2, s3, s5
	v_readfirstlane_b32 s5, v26
	s_mul_i32 s4, s0, s2
	s_mul_hi_u32 s8, s0, s5
	s_mul_hi_u32 s3, s0, s2
	s_add_u32 s4, s8, s4
	s_addc_u32 s3, 0, s3
	s_mul_hi_u32 s9, s1, s5
	s_mul_i32 s5, s1, s5
	s_add_u32 s4, s4, s5
	s_mul_hi_u32 s8, s1, s2
	s_addc_u32 s3, s3, s9
	s_addc_u32 s4, s8, 0
	s_mul_i32 s2, s1, s2
	s_add_u32 s2, s3, s2
	s_addc_u32 s3, 0, s4
	s_add_u32 s4, s2, 1
	s_addc_u32 s5, s3, 0
	s_add_u32 s8, s2, 2
	s_mul_i32 s10, s3, 24
	s_mul_hi_u32 s11, s2, 24
	s_addc_u32 s9, s3, 0
	s_add_i32 s11, s11, s10
	s_mul_i32 s10, s2, 24
	v_mov_b32_e32 v26, s10
	v_sub_co_u32_e32 v26, vcc, s0, v26
	s_cmp_lg_u64 vcc, 0
	s_subb_u32 s10, s1, s11
	v_subrev_co_u32_e32 v27, vcc, 24, v26
	s_cmp_lg_u64 vcc, 0
	s_subb_u32 s11, s10, 0
	v_readfirstlane_b32 s12, v27
	s_cmp_gt_u32 s12, 23
	s_cselect_b32 s12, -1, 0
	s_cmp_eq_u32 s11, 0
	s_cselect_b32 s11, s12, -1
	s_cmp_lg_u32 s11, 0
	s_cselect_b32 s4, s8, s4
	v_readfirstlane_b32 s8, v26
	s_cselect_b32 s5, s9, s5
	s_cmp_gt_u32 s8, 23
	s_cselect_b32 s8, -1, 0
	s_cmp_eq_u32 s10, 0
	s_cselect_b32 s8, s8, -1
	s_cmp_lg_u32 s8, 0
	v_mov_b32_e32 v1, v31
	s_cselect_b32 s3, s5, s3
	s_cselect_b32 s2, s4, s2
	v_cmp_eq_u64_e32 vcc, s[2:3], v[0:1]
	s_and_saveexec_b64 s[2:3], vcc
	s_cbranch_execz .LBB49_150
; %bb.144:
	v_mul_hi_u32_u24_e32 v1, 24, v0
	v_mov_b32_e32 v26, s1
	v_sub_co_u32_e32 v0, vcc, s0, v38
	s_mov_b64 s[0:1], 0
	s_nop 0
	v_subb_co_u32_e32 v1, vcc, v26, v1, vcc
	v_cmp_lt_i64_e32 vcc, 11, v[0:1]
	s_mov_b64 s[10:11], 0
	s_mov_b64 s[8:9], 0
	;; [unrolled: 1-line block ×3, first 2 shown]
	s_and_saveexec_b64 s[2:3], vcc
	s_xor_b64 s[2:3], exec, s[2:3]
	s_cbranch_execnz .LBB49_151
; %bb.145:
	s_andn2_saveexec_b64 s[2:3], s[2:3]
	s_cbranch_execnz .LBB49_196
.LBB49_146:
	s_or_b64 exec, exec, s[2:3]
	s_and_saveexec_b64 s[2:3], s[10:11]
	s_cbranch_execnz .LBB49_211
.LBB49_147:
	s_or_b64 exec, exec, s[2:3]
	s_and_saveexec_b64 s[2:3], s[8:9]
	s_cbranch_execnz .LBB49_212
.LBB49_148:
	s_or_b64 exec, exec, s[2:3]
	s_and_saveexec_b64 s[2:3], s[4:5]
	s_xor_b64 s[2:3], exec, s[2:3]
	s_cbranch_execnz .LBB49_213
.LBB49_149:
	s_or_b64 exec, exec, s[2:3]
	s_and_b64 exec, exec, s[0:1]
	s_cbranch_execnz .LBB49_214
.LBB49_150:
	s_endpgm
.LBB49_151:
	v_cmp_lt_i64_e32 vcc, 17, v[0:1]
	s_and_saveexec_b64 s[12:13], vcc
	s_xor_b64 s[12:13], exec, s[12:13]
	s_cbranch_execz .LBB49_173
; %bb.152:
	v_cmp_lt_i64_e32 vcc, 20, v[0:1]
                                        ; implicit-def: $vgpr9
	s_and_saveexec_b64 s[14:15], vcc
	s_xor_b64 s[14:15], exec, s[14:15]
	s_cbranch_execz .LBB49_162
; %bb.153:
	v_cmp_lt_i64_e32 vcc, 21, v[0:1]
	s_mov_b64 s[16:17], 0
                                        ; implicit-def: $vgpr9
	s_and_saveexec_b64 s[4:5], vcc
	s_xor_b64 s[4:5], exec, s[4:5]
	s_cbranch_execz .LBB49_159
; %bb.154:
	v_cmp_lt_i64_e32 vcc, 22, v[0:1]
	s_and_saveexec_b64 s[16:17], vcc
	s_xor_b64 s[16:17], exec, s[16:17]
	s_cbranch_execz .LBB49_156
; %bb.155:
	s_waitcnt lgkmcnt(0)
	v_mov_b32_e32 v8, 0
	global_store_dword v8, v25, s[6:7]
                                        ; implicit-def: $vgpr24
.LBB49_156:
	s_or_saveexec_b64 s[16:17], s[16:17]
	s_mov_b64 s[18:19], 0
	s_xor_b64 exec, exec, s[16:17]
; %bb.157:
	s_mov_b64 s[18:19], exec
; %bb.158:
	s_or_b64 exec, exec, s[16:17]
	s_and_b64 s[16:17], s[18:19], exec
	s_waitcnt lgkmcnt(0)
	v_mov_b32_e32 v9, v24
                                        ; implicit-def: $vgpr11
.LBB49_159:
	s_andn2_saveexec_b64 s[4:5], s[4:5]
; %bb.160:
	s_mov_b64 s[8:9], exec
                                        ; implicit-def: $vgpr9
; %bb.161:
	s_or_b64 exec, exec, s[4:5]
	s_and_b64 s[4:5], s[16:17], exec
	s_and_b64 s[8:9], s[8:9], exec
                                        ; implicit-def: $vgpr20_vgpr21
.LBB49_162:
	s_andn2_saveexec_b64 s[14:15], s[14:15]
	s_cbranch_execz .LBB49_172
; %bb.163:
	v_cmp_lt_i64_e32 vcc, 18, v[0:1]
	s_mov_b64 s[16:17], 0
	s_and_saveexec_b64 s[10:11], vcc
	s_xor_b64 s[10:11], exec, s[10:11]
	s_cbranch_execz .LBB49_169
; %bb.164:
	v_cmp_lt_i64_e32 vcc, 19, v[0:1]
	s_and_saveexec_b64 s[18:19], vcc
	s_xor_b64 s[18:19], exec, s[18:19]
; %bb.165:
	s_mov_b64 s[16:17], exec
                                        ; implicit-def: $vgpr20_vgpr21
; %bb.166:
	s_andn2_saveexec_b64 s[18:19], s[18:19]
	s_cbranch_execz .LBB49_168
; %bb.167:
	s_waitcnt lgkmcnt(0)
	v_mov_b32_e32 v8, 0
	global_store_dword v8, v21, s[6:7]
                                        ; implicit-def: $vgpr10
.LBB49_168:
	s_or_b64 exec, exec, s[18:19]
	s_and_b64 s[16:17], s[16:17], exec
                                        ; implicit-def: $vgpr20_vgpr21
.LBB49_169:
	s_andn2_saveexec_b64 s[10:11], s[10:11]
	s_cbranch_execz .LBB49_171
; %bb.170:
	s_waitcnt lgkmcnt(0)
	v_mov_b32_e32 v8, 0
	global_store_dword v8, v20, s[6:7]
                                        ; implicit-def: $vgpr10
.LBB49_171:
	s_or_b64 exec, exec, s[10:11]
	s_and_b64 s[10:11], s[16:17], exec
                                        ; implicit-def: $vgpr9
.LBB49_172:
	s_or_b64 exec, exec, s[14:15]
	s_and_b64 s[4:5], s[4:5], exec
	s_and_b64 s[8:9], s[8:9], exec
	;; [unrolled: 1-line block ×3, first 2 shown]
                                        ; implicit-def: $vgpr12
                                        ; implicit-def: $vgpr22_vgpr23
.LBB49_173:
	s_andn2_saveexec_b64 s[12:13], s[12:13]
	s_cbranch_execz .LBB49_195
; %bb.174:
	v_cmp_lt_i64_e32 vcc, 14, v[0:1]
	s_mov_b64 s[14:15], s[4:5]
	s_and_saveexec_b64 s[16:17], vcc
	s_xor_b64 s[16:17], exec, s[16:17]
	s_cbranch_execz .LBB49_184
; %bb.175:
	v_cmp_lt_i64_e32 vcc, 15, v[0:1]
	s_and_saveexec_b64 s[14:15], vcc
	s_xor_b64 s[14:15], exec, s[14:15]
	s_cbranch_execz .LBB49_181
; %bb.176:
	v_cmp_lt_i64_e32 vcc, 16, v[0:1]
	s_and_saveexec_b64 s[18:19], vcc
	s_xor_b64 s[18:19], exec, s[18:19]
	s_cbranch_execz .LBB49_178
; %bb.177:
	s_waitcnt lgkmcnt(0)
	v_mov_b32_e32 v8, 0
	global_store_dword v8, v23, s[6:7]
                                        ; implicit-def: $vgpr22_vgpr23
.LBB49_178:
	s_andn2_saveexec_b64 s[18:19], s[18:19]
	s_cbranch_execz .LBB49_180
; %bb.179:
	s_waitcnt lgkmcnt(0)
	v_mov_b32_e32 v8, 0
	global_store_dword v8, v22, s[6:7]
.LBB49_180:
	s_or_b64 exec, exec, s[18:19]
                                        ; implicit-def: $vgpr9
.LBB49_181:
	s_or_saveexec_b64 s[14:15], s[14:15]
	s_mov_b64 s[18:19], s[4:5]
	s_xor_b64 exec, exec, s[14:15]
; %bb.182:
	s_or_b64 s[18:19], s[4:5], exec
; %bb.183:
	s_or_b64 exec, exec, s[14:15]
	s_andn2_b64 s[14:15], s[4:5], exec
	s_and_b64 s[18:19], s[18:19], exec
	s_or_b64 s[14:15], s[14:15], s[18:19]
                                        ; implicit-def: $vgpr12
.LBB49_184:
	s_or_saveexec_b64 s[16:17], s[16:17]
	s_mov_b64 s[18:19], s[8:9]
                                        ; implicit-def: $vgpr11
	s_xor_b64 exec, exec, s[16:17]
	s_cbranch_execz .LBB49_194
; %bb.185:
	v_cmp_lt_i64_e32 vcc, 12, v[0:1]
	s_mov_b64 s[20:21], s[8:9]
	s_mov_b64 s[22:23], s[14:15]
                                        ; implicit-def: $vgpr11
	s_and_saveexec_b64 s[18:19], vcc
	s_xor_b64 s[18:19], exec, s[18:19]
	s_cbranch_execz .LBB49_191
; %bb.186:
	v_cmp_lt_i64_e32 vcc, 13, v[0:1]
	s_mov_b64 s[20:21], s[14:15]
	s_and_saveexec_b64 s[22:23], vcc
	s_xor_b64 s[22:23], exec, s[22:23]
; %bb.187:
	s_or_b64 s[20:21], s[14:15], exec
                                        ; implicit-def: $vgpr13
; %bb.188:
	s_or_saveexec_b64 s[22:23], s[22:23]
	s_mov_b64 s[24:25], s[8:9]
	s_xor_b64 exec, exec, s[22:23]
; %bb.189:
	s_or_b64 s[24:25], s[8:9], exec
                                        ; implicit-def: $vgpr8
; %bb.190:
	s_or_b64 exec, exec, s[22:23]
	s_andn2_b64 s[22:23], s[14:15], exec
	s_and_b64 s[20:21], s[20:21], exec
	s_or_b64 s[22:23], s[22:23], s[20:21]
	s_andn2_b64 s[20:21], s[8:9], exec
	s_and_b64 s[24:25], s[24:25], exec
	s_or_b64 s[20:21], s[20:21], s[24:25]
	s_waitcnt lgkmcnt(0)
	v_mov_b32_e32 v9, v8
	v_mov_b32_e32 v11, v13
                                        ; implicit-def: $vgpr12
.LBB49_191:
	s_andn2_saveexec_b64 s[18:19], s[18:19]
	s_cbranch_execz .LBB49_193
; %bb.192:
	s_or_b64 s[20:21], s[20:21], exec
                                        ; implicit-def: $vgpr9
	s_waitcnt lgkmcnt(0)
	v_mov_b32_e32 v11, v12
.LBB49_193:
	s_or_b64 exec, exec, s[18:19]
	s_andn2_b64 s[14:15], s[14:15], exec
	s_and_b64 s[18:19], s[22:23], exec
	s_or_b64 s[14:15], s[14:15], s[18:19]
	s_andn2_b64 s[18:19], s[8:9], exec
	s_and_b64 s[20:21], s[20:21], exec
	s_or_b64 s[18:19], s[18:19], s[20:21]
.LBB49_194:
	s_or_b64 exec, exec, s[16:17]
	s_andn2_b64 s[4:5], s[4:5], exec
	s_and_b64 s[14:15], s[14:15], exec
	s_or_b64 s[4:5], s[4:5], s[14:15]
	s_andn2_b64 s[8:9], s[8:9], exec
	s_and_b64 s[14:15], s[18:19], exec
	s_or_b64 s[8:9], s[8:9], s[14:15]
.LBB49_195:
	s_or_b64 exec, exec, s[12:13]
	s_and_b64 s[4:5], s[4:5], exec
	s_and_b64 s[8:9], s[8:9], exec
	s_and_b64 s[10:11], s[10:11], exec
                                        ; implicit-def: $vgpr16
                                        ; implicit-def: $vgpr14
                                        ; implicit-def: $vgpr18
	s_andn2_saveexec_b64 s[2:3], s[2:3]
	s_cbranch_execz .LBB49_146
.LBB49_196:
	v_cmp_lt_i64_e32 vcc, 5, v[0:1]
	s_mov_b64 s[14:15], -1
	s_mov_b64 s[12:13], s[10:11]
	s_mov_b64 s[16:17], s[8:9]
	;; [unrolled: 1-line block ×3, first 2 shown]
                                        ; implicit-def: $vgpr9
                                        ; implicit-def: $vgpr11
	s_and_saveexec_b64 s[0:1], vcc
	s_cbranch_execz .LBB49_210
; %bb.197:
	v_cmp_lt_i64_e32 vcc, 8, v[0:1]
	s_mov_b64 s[12:13], s[10:11]
                                        ; implicit-def: $vgpr10
	s_and_saveexec_b64 s[14:15], vcc
	s_xor_b64 s[14:15], exec, s[14:15]
	s_cbranch_execz .LBB49_205
; %bb.198:
	v_cmp_lt_i64_e32 vcc, 9, v[0:1]
	s_and_saveexec_b64 s[12:13], vcc
	s_xor_b64 s[12:13], exec, s[12:13]
	s_cbranch_execz .LBB49_202
; %bb.199:
	v_cmp_lt_i64_e32 vcc, 10, v[0:1]
	s_and_saveexec_b64 s[16:17], vcc
	s_xor_b64 s[16:17], exec, s[16:17]
	s_andn2_saveexec_b64 s[16:17], s[16:17]
	s_cbranch_execz .LBB49_201
; %bb.200:
	s_waitcnt lgkmcnt(0)
	v_mov_b32_e32 v19, v18
.LBB49_201:
	s_or_b64 exec, exec, s[16:17]
                                        ; implicit-def: $vgpr15
.LBB49_202:
	s_andn2_saveexec_b64 s[12:13], s[12:13]
	s_cbranch_execz .LBB49_204
; %bb.203:
	s_waitcnt lgkmcnt(0)
	v_mov_b32_e32 v19, v15
.LBB49_204:
	s_or_b64 exec, exec, s[12:13]
	s_or_b64 s[12:13], s[10:11], exec
	s_waitcnt lgkmcnt(0)
	v_mov_b32_e32 v10, v19
                                        ; implicit-def: $vgpr16
                                        ; implicit-def: $vgpr14
.LBB49_205:
	s_or_saveexec_b64 s[14:15], s[14:15]
	s_mov_b64 s[16:17], s[8:9]
	s_mov_b64 s[20:21], s[4:5]
                                        ; implicit-def: $vgpr9
	s_xor_b64 exec, exec, s[14:15]
	s_cbranch_execz .LBB49_209
; %bb.206:
	v_cmp_lt_i64_e32 vcc, 6, v[0:1]
	s_mov_b64 s[20:21], -1
	s_mov_b64 s[18:19], s[12:13]
	s_mov_b64 s[16:17], s[8:9]
	s_and_saveexec_b64 s[22:23], vcc
; %bb.207:
	v_cmp_lt_i64_e32 vcc, 7, v[0:1]
	s_andn2_b64 s[18:19], s[12:13], exec
	s_and_b64 s[24:25], vcc, exec
	s_xor_b64 s[20:21], exec, -1
	s_or_b64 s[16:17], s[8:9], exec
	s_or_b64 s[18:19], s[18:19], s[24:25]
; %bb.208:
	s_or_b64 exec, exec, s[22:23]
	s_andn2_b64 s[22:23], s[4:5], exec
	s_and_b64 s[20:21], s[20:21], exec
	s_or_b64 s[20:21], s[22:23], s[20:21]
	s_andn2_b64 s[22:23], s[8:9], exec
	s_and_b64 s[16:17], s[16:17], exec
	s_andn2_b64 s[12:13], s[12:13], exec
	s_and_b64 s[18:19], s[18:19], exec
	s_or_b64 s[16:17], s[22:23], s[16:17]
	s_or_b64 s[12:13], s[12:13], s[18:19]
	s_waitcnt lgkmcnt(0)
	v_mov_b32_e32 v9, v16
	v_mov_b32_e32 v11, v17
	;; [unrolled: 1-line block ×3, first 2 shown]
.LBB49_209:
	s_or_b64 exec, exec, s[14:15]
	s_andn2_b64 s[18:19], s[4:5], exec
	s_and_b64 s[20:21], s[20:21], exec
	s_or_b64 s[18:19], s[18:19], s[20:21]
	s_andn2_b64 s[20:21], s[8:9], exec
	s_and_b64 s[16:17], s[16:17], exec
	s_or_b64 s[16:17], s[20:21], s[16:17]
	s_andn2_b64 s[20:21], s[10:11], exec
	s_and_b64 s[12:13], s[12:13], exec
	s_xor_b64 s[14:15], exec, -1
	s_or_b64 s[12:13], s[20:21], s[12:13]
.LBB49_210:
	s_or_b64 exec, exec, s[0:1]
	s_and_b64 s[0:1], s[14:15], exec
	s_andn2_b64 s[4:5], s[4:5], exec
	s_and_b64 s[14:15], s[18:19], exec
	s_or_b64 s[4:5], s[4:5], s[14:15]
	s_andn2_b64 s[8:9], s[8:9], exec
	s_and_b64 s[14:15], s[16:17], exec
	s_andn2_b64 s[10:11], s[10:11], exec
	s_and_b64 s[12:13], s[12:13], exec
	s_or_b64 s[8:9], s[8:9], s[14:15]
	s_or_b64 s[10:11], s[10:11], s[12:13]
	s_or_b64 exec, exec, s[2:3]
	s_and_saveexec_b64 s[2:3], s[10:11]
	s_cbranch_execz .LBB49_147
.LBB49_211:
	s_waitcnt lgkmcnt(0)
	v_mov_b32_e32 v8, 0
	s_andn2_b64 s[8:9], s[8:9], exec
	global_store_dword v8, v10, s[6:7]
                                        ; implicit-def: $vgpr9
                                        ; implicit-def: $vgpr11
	s_or_b64 exec, exec, s[2:3]
	s_and_saveexec_b64 s[2:3], s[8:9]
	s_cbranch_execz .LBB49_148
.LBB49_212:
	s_waitcnt lgkmcnt(0)
	v_mov_b32_e32 v8, 0
	global_store_dword v8, v11, s[6:7]
                                        ; implicit-def: $vgpr9
	s_or_b64 exec, exec, s[2:3]
	s_and_saveexec_b64 s[2:3], s[4:5]
	s_xor_b64 s[2:3], exec, s[2:3]
	s_cbranch_execz .LBB49_149
.LBB49_213:
	s_waitcnt lgkmcnt(0)
	v_mov_b32_e32 v8, 0
	global_store_dword v8, v9, s[6:7]
	s_or_b64 exec, exec, s[2:3]
	s_and_b64 exec, exec, s[0:1]
	s_cbranch_execz .LBB49_150
.LBB49_214:
	v_cmp_lt_i64_e32 vcc, 2, v[0:1]
	s_and_saveexec_b64 s[0:1], vcc
	s_xor_b64 s[0:1], exec, s[0:1]
	s_cbranch_execz .LBB49_224
; %bb.215:
	v_cmp_lt_i64_e32 vcc, 3, v[0:1]
	s_and_saveexec_b64 s[2:3], vcc
	s_xor_b64 s[2:3], exec, s[2:3]
	s_cbranch_execz .LBB49_221
; %bb.216:
	;; [unrolled: 5-line block ×3, first 2 shown]
	v_mov_b32_e32 v0, 0
	s_waitcnt lgkmcnt(0)
	global_store_dword v0, v7, s[6:7]
                                        ; implicit-def: $vgpr6_vgpr7
.LBB49_218:
	s_andn2_saveexec_b64 s[4:5], s[4:5]
	s_cbranch_execz .LBB49_220
; %bb.219:
	v_mov_b32_e32 v0, 0
	s_waitcnt lgkmcnt(0)
	global_store_dword v0, v6, s[6:7]
.LBB49_220:
	s_or_b64 exec, exec, s[4:5]
                                        ; implicit-def: $vgpr4_vgpr5
.LBB49_221:
	s_andn2_saveexec_b64 s[2:3], s[2:3]
	s_cbranch_execz .LBB49_223
; %bb.222:
	v_mov_b32_e32 v0, 0
	s_waitcnt lgkmcnt(0)
	global_store_dword v0, v5, s[6:7]
.LBB49_223:
	s_or_b64 exec, exec, s[2:3]
                                        ; implicit-def: $vgpr0_vgpr1
                                        ; implicit-def: $vgpr4_vgpr5
                                        ; implicit-def: $vgpr2_vgpr3
.LBB49_224:
	s_andn2_saveexec_b64 s[0:1], s[0:1]
	s_cbranch_execz .LBB49_150
; %bb.225:
	v_cmp_lt_i64_e32 vcc, 1, v[0:1]
	s_and_saveexec_b64 s[0:1], vcc
	s_xor_b64 s[0:1], exec, s[0:1]
	s_cbranch_execz .LBB49_227
; %bb.226:
	v_mov_b32_e32 v0, 0
	s_waitcnt lgkmcnt(0)
	global_store_dword v0, v4, s[6:7]
                                        ; implicit-def: $vgpr2_vgpr3
                                        ; implicit-def: $vgpr0_vgpr1
.LBB49_227:
	s_andn2_saveexec_b64 s[0:1], s[0:1]
	s_cbranch_execz .LBB49_150
; %bb.228:
	v_cmp_ne_u64_e32 vcc, 1, v[0:1]
	s_and_saveexec_b64 s[0:1], vcc
	s_xor_b64 s[0:1], exec, s[0:1]
	s_cbranch_execz .LBB49_230
; %bb.229:
	v_mov_b32_e32 v0, 0
	s_waitcnt lgkmcnt(0)
	global_store_dword v0, v2, s[6:7]
                                        ; implicit-def: $vgpr2_vgpr3
.LBB49_230:
	s_andn2_saveexec_b64 s[0:1], s[0:1]
	s_cbranch_execz .LBB49_150
; %bb.231:
	v_mov_b32_e32 v0, 0
	s_waitcnt lgkmcnt(0)
	global_store_dword v0, v3, s[6:7]
	s_endpgm
	.section	.rodata,"a",@progbits
	.p2align	6, 0x0
	.amdhsa_kernel _ZN7rocprim17ROCPRIM_400000_NS6detail17trampoline_kernelINS0_14default_configENS1_20scan_config_selectorIfEEZZNS1_9scan_implILNS1_25lookback_scan_determinismE0ELb1ELb1ES3_N6thrust23THRUST_200600_302600_NS6detail15normal_iteratorINS9_10device_ptrIKfEEEENSB_INSC_IfEEEEfNS9_4plusIvEEfEEDaPvRmT3_T4_T5_mT6_P12ihipStream_tbENKUlT_T0_E_clISt17integral_constantIbLb1EESW_IbLb0EEEEDaSS_ST_EUlSS_E_NS1_11comp_targetILNS1_3genE5ELNS1_11target_archE942ELNS1_3gpuE9ELNS1_3repE0EEENS1_30default_config_static_selectorELNS0_4arch9wavefront6targetE1EEEvT1_
		.amdhsa_group_segment_fixed_size 24576
		.amdhsa_private_segment_fixed_size 0
		.amdhsa_kernarg_size 96
		.amdhsa_user_sgpr_count 2
		.amdhsa_user_sgpr_dispatch_ptr 0
		.amdhsa_user_sgpr_queue_ptr 0
		.amdhsa_user_sgpr_kernarg_segment_ptr 1
		.amdhsa_user_sgpr_dispatch_id 0
		.amdhsa_user_sgpr_kernarg_preload_length 0
		.amdhsa_user_sgpr_kernarg_preload_offset 0
		.amdhsa_user_sgpr_private_segment_size 0
		.amdhsa_uses_dynamic_stack 0
		.amdhsa_enable_private_segment 0
		.amdhsa_system_sgpr_workgroup_id_x 1
		.amdhsa_system_sgpr_workgroup_id_y 0
		.amdhsa_system_sgpr_workgroup_id_z 0
		.amdhsa_system_sgpr_workgroup_info 0
		.amdhsa_system_vgpr_workitem_id 0
		.amdhsa_next_free_vgpr 59
		.amdhsa_next_free_sgpr 32
		.amdhsa_accum_offset 60
		.amdhsa_reserve_vcc 1
		.amdhsa_float_round_mode_32 0
		.amdhsa_float_round_mode_16_64 0
		.amdhsa_float_denorm_mode_32 3
		.amdhsa_float_denorm_mode_16_64 3
		.amdhsa_dx10_clamp 1
		.amdhsa_ieee_mode 1
		.amdhsa_fp16_overflow 0
		.amdhsa_tg_split 0
		.amdhsa_exception_fp_ieee_invalid_op 0
		.amdhsa_exception_fp_denorm_src 0
		.amdhsa_exception_fp_ieee_div_zero 0
		.amdhsa_exception_fp_ieee_overflow 0
		.amdhsa_exception_fp_ieee_underflow 0
		.amdhsa_exception_fp_ieee_inexact 0
		.amdhsa_exception_int_div_zero 0
	.end_amdhsa_kernel
	.section	.text._ZN7rocprim17ROCPRIM_400000_NS6detail17trampoline_kernelINS0_14default_configENS1_20scan_config_selectorIfEEZZNS1_9scan_implILNS1_25lookback_scan_determinismE0ELb1ELb1ES3_N6thrust23THRUST_200600_302600_NS6detail15normal_iteratorINS9_10device_ptrIKfEEEENSB_INSC_IfEEEEfNS9_4plusIvEEfEEDaPvRmT3_T4_T5_mT6_P12ihipStream_tbENKUlT_T0_E_clISt17integral_constantIbLb1EESW_IbLb0EEEEDaSS_ST_EUlSS_E_NS1_11comp_targetILNS1_3genE5ELNS1_11target_archE942ELNS1_3gpuE9ELNS1_3repE0EEENS1_30default_config_static_selectorELNS0_4arch9wavefront6targetE1EEEvT1_,"axG",@progbits,_ZN7rocprim17ROCPRIM_400000_NS6detail17trampoline_kernelINS0_14default_configENS1_20scan_config_selectorIfEEZZNS1_9scan_implILNS1_25lookback_scan_determinismE0ELb1ELb1ES3_N6thrust23THRUST_200600_302600_NS6detail15normal_iteratorINS9_10device_ptrIKfEEEENSB_INSC_IfEEEEfNS9_4plusIvEEfEEDaPvRmT3_T4_T5_mT6_P12ihipStream_tbENKUlT_T0_E_clISt17integral_constantIbLb1EESW_IbLb0EEEEDaSS_ST_EUlSS_E_NS1_11comp_targetILNS1_3genE5ELNS1_11target_archE942ELNS1_3gpuE9ELNS1_3repE0EEENS1_30default_config_static_selectorELNS0_4arch9wavefront6targetE1EEEvT1_,comdat
.Lfunc_end49:
	.size	_ZN7rocprim17ROCPRIM_400000_NS6detail17trampoline_kernelINS0_14default_configENS1_20scan_config_selectorIfEEZZNS1_9scan_implILNS1_25lookback_scan_determinismE0ELb1ELb1ES3_N6thrust23THRUST_200600_302600_NS6detail15normal_iteratorINS9_10device_ptrIKfEEEENSB_INSC_IfEEEEfNS9_4plusIvEEfEEDaPvRmT3_T4_T5_mT6_P12ihipStream_tbENKUlT_T0_E_clISt17integral_constantIbLb1EESW_IbLb0EEEEDaSS_ST_EUlSS_E_NS1_11comp_targetILNS1_3genE5ELNS1_11target_archE942ELNS1_3gpuE9ELNS1_3repE0EEENS1_30default_config_static_selectorELNS0_4arch9wavefront6targetE1EEEvT1_, .Lfunc_end49-_ZN7rocprim17ROCPRIM_400000_NS6detail17trampoline_kernelINS0_14default_configENS1_20scan_config_selectorIfEEZZNS1_9scan_implILNS1_25lookback_scan_determinismE0ELb1ELb1ES3_N6thrust23THRUST_200600_302600_NS6detail15normal_iteratorINS9_10device_ptrIKfEEEENSB_INSC_IfEEEEfNS9_4plusIvEEfEEDaPvRmT3_T4_T5_mT6_P12ihipStream_tbENKUlT_T0_E_clISt17integral_constantIbLb1EESW_IbLb0EEEEDaSS_ST_EUlSS_E_NS1_11comp_targetILNS1_3genE5ELNS1_11target_archE942ELNS1_3gpuE9ELNS1_3repE0EEENS1_30default_config_static_selectorELNS0_4arch9wavefront6targetE1EEEvT1_
                                        ; -- End function
	.section	.AMDGPU.csdata,"",@progbits
; Kernel info:
; codeLenInByte = 8096
; NumSgprs: 38
; NumVgprs: 59
; NumAgprs: 0
; TotalNumVgprs: 59
; ScratchSize: 0
; MemoryBound: 0
; FloatMode: 240
; IeeeMode: 1
; LDSByteSize: 24576 bytes/workgroup (compile time only)
; SGPRBlocks: 4
; VGPRBlocks: 7
; NumSGPRsForWavesPerEU: 38
; NumVGPRsForWavesPerEU: 59
; AccumOffset: 60
; Occupancy: 2
; WaveLimiterHint : 1
; COMPUTE_PGM_RSRC2:SCRATCH_EN: 0
; COMPUTE_PGM_RSRC2:USER_SGPR: 2
; COMPUTE_PGM_RSRC2:TRAP_HANDLER: 0
; COMPUTE_PGM_RSRC2:TGID_X_EN: 1
; COMPUTE_PGM_RSRC2:TGID_Y_EN: 0
; COMPUTE_PGM_RSRC2:TGID_Z_EN: 0
; COMPUTE_PGM_RSRC2:TIDIG_COMP_CNT: 0
; COMPUTE_PGM_RSRC3_GFX90A:ACCUM_OFFSET: 14
; COMPUTE_PGM_RSRC3_GFX90A:TG_SPLIT: 0
	.section	.text._ZN7rocprim17ROCPRIM_400000_NS6detail17trampoline_kernelINS0_14default_configENS1_20scan_config_selectorIfEEZZNS1_9scan_implILNS1_25lookback_scan_determinismE0ELb1ELb1ES3_N6thrust23THRUST_200600_302600_NS6detail15normal_iteratorINS9_10device_ptrIKfEEEENSB_INSC_IfEEEEfNS9_4plusIvEEfEEDaPvRmT3_T4_T5_mT6_P12ihipStream_tbENKUlT_T0_E_clISt17integral_constantIbLb1EESW_IbLb0EEEEDaSS_ST_EUlSS_E_NS1_11comp_targetILNS1_3genE4ELNS1_11target_archE910ELNS1_3gpuE8ELNS1_3repE0EEENS1_30default_config_static_selectorELNS0_4arch9wavefront6targetE1EEEvT1_,"axG",@progbits,_ZN7rocprim17ROCPRIM_400000_NS6detail17trampoline_kernelINS0_14default_configENS1_20scan_config_selectorIfEEZZNS1_9scan_implILNS1_25lookback_scan_determinismE0ELb1ELb1ES3_N6thrust23THRUST_200600_302600_NS6detail15normal_iteratorINS9_10device_ptrIKfEEEENSB_INSC_IfEEEEfNS9_4plusIvEEfEEDaPvRmT3_T4_T5_mT6_P12ihipStream_tbENKUlT_T0_E_clISt17integral_constantIbLb1EESW_IbLb0EEEEDaSS_ST_EUlSS_E_NS1_11comp_targetILNS1_3genE4ELNS1_11target_archE910ELNS1_3gpuE8ELNS1_3repE0EEENS1_30default_config_static_selectorELNS0_4arch9wavefront6targetE1EEEvT1_,comdat
	.protected	_ZN7rocprim17ROCPRIM_400000_NS6detail17trampoline_kernelINS0_14default_configENS1_20scan_config_selectorIfEEZZNS1_9scan_implILNS1_25lookback_scan_determinismE0ELb1ELb1ES3_N6thrust23THRUST_200600_302600_NS6detail15normal_iteratorINS9_10device_ptrIKfEEEENSB_INSC_IfEEEEfNS9_4plusIvEEfEEDaPvRmT3_T4_T5_mT6_P12ihipStream_tbENKUlT_T0_E_clISt17integral_constantIbLb1EESW_IbLb0EEEEDaSS_ST_EUlSS_E_NS1_11comp_targetILNS1_3genE4ELNS1_11target_archE910ELNS1_3gpuE8ELNS1_3repE0EEENS1_30default_config_static_selectorELNS0_4arch9wavefront6targetE1EEEvT1_ ; -- Begin function _ZN7rocprim17ROCPRIM_400000_NS6detail17trampoline_kernelINS0_14default_configENS1_20scan_config_selectorIfEEZZNS1_9scan_implILNS1_25lookback_scan_determinismE0ELb1ELb1ES3_N6thrust23THRUST_200600_302600_NS6detail15normal_iteratorINS9_10device_ptrIKfEEEENSB_INSC_IfEEEEfNS9_4plusIvEEfEEDaPvRmT3_T4_T5_mT6_P12ihipStream_tbENKUlT_T0_E_clISt17integral_constantIbLb1EESW_IbLb0EEEEDaSS_ST_EUlSS_E_NS1_11comp_targetILNS1_3genE4ELNS1_11target_archE910ELNS1_3gpuE8ELNS1_3repE0EEENS1_30default_config_static_selectorELNS0_4arch9wavefront6targetE1EEEvT1_
	.globl	_ZN7rocprim17ROCPRIM_400000_NS6detail17trampoline_kernelINS0_14default_configENS1_20scan_config_selectorIfEEZZNS1_9scan_implILNS1_25lookback_scan_determinismE0ELb1ELb1ES3_N6thrust23THRUST_200600_302600_NS6detail15normal_iteratorINS9_10device_ptrIKfEEEENSB_INSC_IfEEEEfNS9_4plusIvEEfEEDaPvRmT3_T4_T5_mT6_P12ihipStream_tbENKUlT_T0_E_clISt17integral_constantIbLb1EESW_IbLb0EEEEDaSS_ST_EUlSS_E_NS1_11comp_targetILNS1_3genE4ELNS1_11target_archE910ELNS1_3gpuE8ELNS1_3repE0EEENS1_30default_config_static_selectorELNS0_4arch9wavefront6targetE1EEEvT1_
	.p2align	8
	.type	_ZN7rocprim17ROCPRIM_400000_NS6detail17trampoline_kernelINS0_14default_configENS1_20scan_config_selectorIfEEZZNS1_9scan_implILNS1_25lookback_scan_determinismE0ELb1ELb1ES3_N6thrust23THRUST_200600_302600_NS6detail15normal_iteratorINS9_10device_ptrIKfEEEENSB_INSC_IfEEEEfNS9_4plusIvEEfEEDaPvRmT3_T4_T5_mT6_P12ihipStream_tbENKUlT_T0_E_clISt17integral_constantIbLb1EESW_IbLb0EEEEDaSS_ST_EUlSS_E_NS1_11comp_targetILNS1_3genE4ELNS1_11target_archE910ELNS1_3gpuE8ELNS1_3repE0EEENS1_30default_config_static_selectorELNS0_4arch9wavefront6targetE1EEEvT1_,@function
_ZN7rocprim17ROCPRIM_400000_NS6detail17trampoline_kernelINS0_14default_configENS1_20scan_config_selectorIfEEZZNS1_9scan_implILNS1_25lookback_scan_determinismE0ELb1ELb1ES3_N6thrust23THRUST_200600_302600_NS6detail15normal_iteratorINS9_10device_ptrIKfEEEENSB_INSC_IfEEEEfNS9_4plusIvEEfEEDaPvRmT3_T4_T5_mT6_P12ihipStream_tbENKUlT_T0_E_clISt17integral_constantIbLb1EESW_IbLb0EEEEDaSS_ST_EUlSS_E_NS1_11comp_targetILNS1_3genE4ELNS1_11target_archE910ELNS1_3gpuE8ELNS1_3repE0EEENS1_30default_config_static_selectorELNS0_4arch9wavefront6targetE1EEEvT1_: ; @_ZN7rocprim17ROCPRIM_400000_NS6detail17trampoline_kernelINS0_14default_configENS1_20scan_config_selectorIfEEZZNS1_9scan_implILNS1_25lookback_scan_determinismE0ELb1ELb1ES3_N6thrust23THRUST_200600_302600_NS6detail15normal_iteratorINS9_10device_ptrIKfEEEENSB_INSC_IfEEEEfNS9_4plusIvEEfEEDaPvRmT3_T4_T5_mT6_P12ihipStream_tbENKUlT_T0_E_clISt17integral_constantIbLb1EESW_IbLb0EEEEDaSS_ST_EUlSS_E_NS1_11comp_targetILNS1_3genE4ELNS1_11target_archE910ELNS1_3gpuE8ELNS1_3repE0EEENS1_30default_config_static_selectorELNS0_4arch9wavefront6targetE1EEEvT1_
; %bb.0:
	.section	.rodata,"a",@progbits
	.p2align	6, 0x0
	.amdhsa_kernel _ZN7rocprim17ROCPRIM_400000_NS6detail17trampoline_kernelINS0_14default_configENS1_20scan_config_selectorIfEEZZNS1_9scan_implILNS1_25lookback_scan_determinismE0ELb1ELb1ES3_N6thrust23THRUST_200600_302600_NS6detail15normal_iteratorINS9_10device_ptrIKfEEEENSB_INSC_IfEEEEfNS9_4plusIvEEfEEDaPvRmT3_T4_T5_mT6_P12ihipStream_tbENKUlT_T0_E_clISt17integral_constantIbLb1EESW_IbLb0EEEEDaSS_ST_EUlSS_E_NS1_11comp_targetILNS1_3genE4ELNS1_11target_archE910ELNS1_3gpuE8ELNS1_3repE0EEENS1_30default_config_static_selectorELNS0_4arch9wavefront6targetE1EEEvT1_
		.amdhsa_group_segment_fixed_size 0
		.amdhsa_private_segment_fixed_size 0
		.amdhsa_kernarg_size 96
		.amdhsa_user_sgpr_count 2
		.amdhsa_user_sgpr_dispatch_ptr 0
		.amdhsa_user_sgpr_queue_ptr 0
		.amdhsa_user_sgpr_kernarg_segment_ptr 1
		.amdhsa_user_sgpr_dispatch_id 0
		.amdhsa_user_sgpr_kernarg_preload_length 0
		.amdhsa_user_sgpr_kernarg_preload_offset 0
		.amdhsa_user_sgpr_private_segment_size 0
		.amdhsa_uses_dynamic_stack 0
		.amdhsa_enable_private_segment 0
		.amdhsa_system_sgpr_workgroup_id_x 1
		.amdhsa_system_sgpr_workgroup_id_y 0
		.amdhsa_system_sgpr_workgroup_id_z 0
		.amdhsa_system_sgpr_workgroup_info 0
		.amdhsa_system_vgpr_workitem_id 0
		.amdhsa_next_free_vgpr 1
		.amdhsa_next_free_sgpr 0
		.amdhsa_accum_offset 4
		.amdhsa_reserve_vcc 0
		.amdhsa_float_round_mode_32 0
		.amdhsa_float_round_mode_16_64 0
		.amdhsa_float_denorm_mode_32 3
		.amdhsa_float_denorm_mode_16_64 3
		.amdhsa_dx10_clamp 1
		.amdhsa_ieee_mode 1
		.amdhsa_fp16_overflow 0
		.amdhsa_tg_split 0
		.amdhsa_exception_fp_ieee_invalid_op 0
		.amdhsa_exception_fp_denorm_src 0
		.amdhsa_exception_fp_ieee_div_zero 0
		.amdhsa_exception_fp_ieee_overflow 0
		.amdhsa_exception_fp_ieee_underflow 0
		.amdhsa_exception_fp_ieee_inexact 0
		.amdhsa_exception_int_div_zero 0
	.end_amdhsa_kernel
	.section	.text._ZN7rocprim17ROCPRIM_400000_NS6detail17trampoline_kernelINS0_14default_configENS1_20scan_config_selectorIfEEZZNS1_9scan_implILNS1_25lookback_scan_determinismE0ELb1ELb1ES3_N6thrust23THRUST_200600_302600_NS6detail15normal_iteratorINS9_10device_ptrIKfEEEENSB_INSC_IfEEEEfNS9_4plusIvEEfEEDaPvRmT3_T4_T5_mT6_P12ihipStream_tbENKUlT_T0_E_clISt17integral_constantIbLb1EESW_IbLb0EEEEDaSS_ST_EUlSS_E_NS1_11comp_targetILNS1_3genE4ELNS1_11target_archE910ELNS1_3gpuE8ELNS1_3repE0EEENS1_30default_config_static_selectorELNS0_4arch9wavefront6targetE1EEEvT1_,"axG",@progbits,_ZN7rocprim17ROCPRIM_400000_NS6detail17trampoline_kernelINS0_14default_configENS1_20scan_config_selectorIfEEZZNS1_9scan_implILNS1_25lookback_scan_determinismE0ELb1ELb1ES3_N6thrust23THRUST_200600_302600_NS6detail15normal_iteratorINS9_10device_ptrIKfEEEENSB_INSC_IfEEEEfNS9_4plusIvEEfEEDaPvRmT3_T4_T5_mT6_P12ihipStream_tbENKUlT_T0_E_clISt17integral_constantIbLb1EESW_IbLb0EEEEDaSS_ST_EUlSS_E_NS1_11comp_targetILNS1_3genE4ELNS1_11target_archE910ELNS1_3gpuE8ELNS1_3repE0EEENS1_30default_config_static_selectorELNS0_4arch9wavefront6targetE1EEEvT1_,comdat
.Lfunc_end50:
	.size	_ZN7rocprim17ROCPRIM_400000_NS6detail17trampoline_kernelINS0_14default_configENS1_20scan_config_selectorIfEEZZNS1_9scan_implILNS1_25lookback_scan_determinismE0ELb1ELb1ES3_N6thrust23THRUST_200600_302600_NS6detail15normal_iteratorINS9_10device_ptrIKfEEEENSB_INSC_IfEEEEfNS9_4plusIvEEfEEDaPvRmT3_T4_T5_mT6_P12ihipStream_tbENKUlT_T0_E_clISt17integral_constantIbLb1EESW_IbLb0EEEEDaSS_ST_EUlSS_E_NS1_11comp_targetILNS1_3genE4ELNS1_11target_archE910ELNS1_3gpuE8ELNS1_3repE0EEENS1_30default_config_static_selectorELNS0_4arch9wavefront6targetE1EEEvT1_, .Lfunc_end50-_ZN7rocprim17ROCPRIM_400000_NS6detail17trampoline_kernelINS0_14default_configENS1_20scan_config_selectorIfEEZZNS1_9scan_implILNS1_25lookback_scan_determinismE0ELb1ELb1ES3_N6thrust23THRUST_200600_302600_NS6detail15normal_iteratorINS9_10device_ptrIKfEEEENSB_INSC_IfEEEEfNS9_4plusIvEEfEEDaPvRmT3_T4_T5_mT6_P12ihipStream_tbENKUlT_T0_E_clISt17integral_constantIbLb1EESW_IbLb0EEEEDaSS_ST_EUlSS_E_NS1_11comp_targetILNS1_3genE4ELNS1_11target_archE910ELNS1_3gpuE8ELNS1_3repE0EEENS1_30default_config_static_selectorELNS0_4arch9wavefront6targetE1EEEvT1_
                                        ; -- End function
	.section	.AMDGPU.csdata,"",@progbits
; Kernel info:
; codeLenInByte = 0
; NumSgprs: 6
; NumVgprs: 0
; NumAgprs: 0
; TotalNumVgprs: 0
; ScratchSize: 0
; MemoryBound: 0
; FloatMode: 240
; IeeeMode: 1
; LDSByteSize: 0 bytes/workgroup (compile time only)
; SGPRBlocks: 0
; VGPRBlocks: 0
; NumSGPRsForWavesPerEU: 6
; NumVGPRsForWavesPerEU: 1
; AccumOffset: 4
; Occupancy: 8
; WaveLimiterHint : 0
; COMPUTE_PGM_RSRC2:SCRATCH_EN: 0
; COMPUTE_PGM_RSRC2:USER_SGPR: 2
; COMPUTE_PGM_RSRC2:TRAP_HANDLER: 0
; COMPUTE_PGM_RSRC2:TGID_X_EN: 1
; COMPUTE_PGM_RSRC2:TGID_Y_EN: 0
; COMPUTE_PGM_RSRC2:TGID_Z_EN: 0
; COMPUTE_PGM_RSRC2:TIDIG_COMP_CNT: 0
; COMPUTE_PGM_RSRC3_GFX90A:ACCUM_OFFSET: 0
; COMPUTE_PGM_RSRC3_GFX90A:TG_SPLIT: 0
	.section	.text._ZN7rocprim17ROCPRIM_400000_NS6detail17trampoline_kernelINS0_14default_configENS1_20scan_config_selectorIfEEZZNS1_9scan_implILNS1_25lookback_scan_determinismE0ELb1ELb1ES3_N6thrust23THRUST_200600_302600_NS6detail15normal_iteratorINS9_10device_ptrIKfEEEENSB_INSC_IfEEEEfNS9_4plusIvEEfEEDaPvRmT3_T4_T5_mT6_P12ihipStream_tbENKUlT_T0_E_clISt17integral_constantIbLb1EESW_IbLb0EEEEDaSS_ST_EUlSS_E_NS1_11comp_targetILNS1_3genE3ELNS1_11target_archE908ELNS1_3gpuE7ELNS1_3repE0EEENS1_30default_config_static_selectorELNS0_4arch9wavefront6targetE1EEEvT1_,"axG",@progbits,_ZN7rocprim17ROCPRIM_400000_NS6detail17trampoline_kernelINS0_14default_configENS1_20scan_config_selectorIfEEZZNS1_9scan_implILNS1_25lookback_scan_determinismE0ELb1ELb1ES3_N6thrust23THRUST_200600_302600_NS6detail15normal_iteratorINS9_10device_ptrIKfEEEENSB_INSC_IfEEEEfNS9_4plusIvEEfEEDaPvRmT3_T4_T5_mT6_P12ihipStream_tbENKUlT_T0_E_clISt17integral_constantIbLb1EESW_IbLb0EEEEDaSS_ST_EUlSS_E_NS1_11comp_targetILNS1_3genE3ELNS1_11target_archE908ELNS1_3gpuE7ELNS1_3repE0EEENS1_30default_config_static_selectorELNS0_4arch9wavefront6targetE1EEEvT1_,comdat
	.protected	_ZN7rocprim17ROCPRIM_400000_NS6detail17trampoline_kernelINS0_14default_configENS1_20scan_config_selectorIfEEZZNS1_9scan_implILNS1_25lookback_scan_determinismE0ELb1ELb1ES3_N6thrust23THRUST_200600_302600_NS6detail15normal_iteratorINS9_10device_ptrIKfEEEENSB_INSC_IfEEEEfNS9_4plusIvEEfEEDaPvRmT3_T4_T5_mT6_P12ihipStream_tbENKUlT_T0_E_clISt17integral_constantIbLb1EESW_IbLb0EEEEDaSS_ST_EUlSS_E_NS1_11comp_targetILNS1_3genE3ELNS1_11target_archE908ELNS1_3gpuE7ELNS1_3repE0EEENS1_30default_config_static_selectorELNS0_4arch9wavefront6targetE1EEEvT1_ ; -- Begin function _ZN7rocprim17ROCPRIM_400000_NS6detail17trampoline_kernelINS0_14default_configENS1_20scan_config_selectorIfEEZZNS1_9scan_implILNS1_25lookback_scan_determinismE0ELb1ELb1ES3_N6thrust23THRUST_200600_302600_NS6detail15normal_iteratorINS9_10device_ptrIKfEEEENSB_INSC_IfEEEEfNS9_4plusIvEEfEEDaPvRmT3_T4_T5_mT6_P12ihipStream_tbENKUlT_T0_E_clISt17integral_constantIbLb1EESW_IbLb0EEEEDaSS_ST_EUlSS_E_NS1_11comp_targetILNS1_3genE3ELNS1_11target_archE908ELNS1_3gpuE7ELNS1_3repE0EEENS1_30default_config_static_selectorELNS0_4arch9wavefront6targetE1EEEvT1_
	.globl	_ZN7rocprim17ROCPRIM_400000_NS6detail17trampoline_kernelINS0_14default_configENS1_20scan_config_selectorIfEEZZNS1_9scan_implILNS1_25lookback_scan_determinismE0ELb1ELb1ES3_N6thrust23THRUST_200600_302600_NS6detail15normal_iteratorINS9_10device_ptrIKfEEEENSB_INSC_IfEEEEfNS9_4plusIvEEfEEDaPvRmT3_T4_T5_mT6_P12ihipStream_tbENKUlT_T0_E_clISt17integral_constantIbLb1EESW_IbLb0EEEEDaSS_ST_EUlSS_E_NS1_11comp_targetILNS1_3genE3ELNS1_11target_archE908ELNS1_3gpuE7ELNS1_3repE0EEENS1_30default_config_static_selectorELNS0_4arch9wavefront6targetE1EEEvT1_
	.p2align	8
	.type	_ZN7rocprim17ROCPRIM_400000_NS6detail17trampoline_kernelINS0_14default_configENS1_20scan_config_selectorIfEEZZNS1_9scan_implILNS1_25lookback_scan_determinismE0ELb1ELb1ES3_N6thrust23THRUST_200600_302600_NS6detail15normal_iteratorINS9_10device_ptrIKfEEEENSB_INSC_IfEEEEfNS9_4plusIvEEfEEDaPvRmT3_T4_T5_mT6_P12ihipStream_tbENKUlT_T0_E_clISt17integral_constantIbLb1EESW_IbLb0EEEEDaSS_ST_EUlSS_E_NS1_11comp_targetILNS1_3genE3ELNS1_11target_archE908ELNS1_3gpuE7ELNS1_3repE0EEENS1_30default_config_static_selectorELNS0_4arch9wavefront6targetE1EEEvT1_,@function
_ZN7rocprim17ROCPRIM_400000_NS6detail17trampoline_kernelINS0_14default_configENS1_20scan_config_selectorIfEEZZNS1_9scan_implILNS1_25lookback_scan_determinismE0ELb1ELb1ES3_N6thrust23THRUST_200600_302600_NS6detail15normal_iteratorINS9_10device_ptrIKfEEEENSB_INSC_IfEEEEfNS9_4plusIvEEfEEDaPvRmT3_T4_T5_mT6_P12ihipStream_tbENKUlT_T0_E_clISt17integral_constantIbLb1EESW_IbLb0EEEEDaSS_ST_EUlSS_E_NS1_11comp_targetILNS1_3genE3ELNS1_11target_archE908ELNS1_3gpuE7ELNS1_3repE0EEENS1_30default_config_static_selectorELNS0_4arch9wavefront6targetE1EEEvT1_: ; @_ZN7rocprim17ROCPRIM_400000_NS6detail17trampoline_kernelINS0_14default_configENS1_20scan_config_selectorIfEEZZNS1_9scan_implILNS1_25lookback_scan_determinismE0ELb1ELb1ES3_N6thrust23THRUST_200600_302600_NS6detail15normal_iteratorINS9_10device_ptrIKfEEEENSB_INSC_IfEEEEfNS9_4plusIvEEfEEDaPvRmT3_T4_T5_mT6_P12ihipStream_tbENKUlT_T0_E_clISt17integral_constantIbLb1EESW_IbLb0EEEEDaSS_ST_EUlSS_E_NS1_11comp_targetILNS1_3genE3ELNS1_11target_archE908ELNS1_3gpuE7ELNS1_3repE0EEENS1_30default_config_static_selectorELNS0_4arch9wavefront6targetE1EEEvT1_
; %bb.0:
	.section	.rodata,"a",@progbits
	.p2align	6, 0x0
	.amdhsa_kernel _ZN7rocprim17ROCPRIM_400000_NS6detail17trampoline_kernelINS0_14default_configENS1_20scan_config_selectorIfEEZZNS1_9scan_implILNS1_25lookback_scan_determinismE0ELb1ELb1ES3_N6thrust23THRUST_200600_302600_NS6detail15normal_iteratorINS9_10device_ptrIKfEEEENSB_INSC_IfEEEEfNS9_4plusIvEEfEEDaPvRmT3_T4_T5_mT6_P12ihipStream_tbENKUlT_T0_E_clISt17integral_constantIbLb1EESW_IbLb0EEEEDaSS_ST_EUlSS_E_NS1_11comp_targetILNS1_3genE3ELNS1_11target_archE908ELNS1_3gpuE7ELNS1_3repE0EEENS1_30default_config_static_selectorELNS0_4arch9wavefront6targetE1EEEvT1_
		.amdhsa_group_segment_fixed_size 0
		.amdhsa_private_segment_fixed_size 0
		.amdhsa_kernarg_size 96
		.amdhsa_user_sgpr_count 2
		.amdhsa_user_sgpr_dispatch_ptr 0
		.amdhsa_user_sgpr_queue_ptr 0
		.amdhsa_user_sgpr_kernarg_segment_ptr 1
		.amdhsa_user_sgpr_dispatch_id 0
		.amdhsa_user_sgpr_kernarg_preload_length 0
		.amdhsa_user_sgpr_kernarg_preload_offset 0
		.amdhsa_user_sgpr_private_segment_size 0
		.amdhsa_uses_dynamic_stack 0
		.amdhsa_enable_private_segment 0
		.amdhsa_system_sgpr_workgroup_id_x 1
		.amdhsa_system_sgpr_workgroup_id_y 0
		.amdhsa_system_sgpr_workgroup_id_z 0
		.amdhsa_system_sgpr_workgroup_info 0
		.amdhsa_system_vgpr_workitem_id 0
		.amdhsa_next_free_vgpr 1
		.amdhsa_next_free_sgpr 0
		.amdhsa_accum_offset 4
		.amdhsa_reserve_vcc 0
		.amdhsa_float_round_mode_32 0
		.amdhsa_float_round_mode_16_64 0
		.amdhsa_float_denorm_mode_32 3
		.amdhsa_float_denorm_mode_16_64 3
		.amdhsa_dx10_clamp 1
		.amdhsa_ieee_mode 1
		.amdhsa_fp16_overflow 0
		.amdhsa_tg_split 0
		.amdhsa_exception_fp_ieee_invalid_op 0
		.amdhsa_exception_fp_denorm_src 0
		.amdhsa_exception_fp_ieee_div_zero 0
		.amdhsa_exception_fp_ieee_overflow 0
		.amdhsa_exception_fp_ieee_underflow 0
		.amdhsa_exception_fp_ieee_inexact 0
		.amdhsa_exception_int_div_zero 0
	.end_amdhsa_kernel
	.section	.text._ZN7rocprim17ROCPRIM_400000_NS6detail17trampoline_kernelINS0_14default_configENS1_20scan_config_selectorIfEEZZNS1_9scan_implILNS1_25lookback_scan_determinismE0ELb1ELb1ES3_N6thrust23THRUST_200600_302600_NS6detail15normal_iteratorINS9_10device_ptrIKfEEEENSB_INSC_IfEEEEfNS9_4plusIvEEfEEDaPvRmT3_T4_T5_mT6_P12ihipStream_tbENKUlT_T0_E_clISt17integral_constantIbLb1EESW_IbLb0EEEEDaSS_ST_EUlSS_E_NS1_11comp_targetILNS1_3genE3ELNS1_11target_archE908ELNS1_3gpuE7ELNS1_3repE0EEENS1_30default_config_static_selectorELNS0_4arch9wavefront6targetE1EEEvT1_,"axG",@progbits,_ZN7rocprim17ROCPRIM_400000_NS6detail17trampoline_kernelINS0_14default_configENS1_20scan_config_selectorIfEEZZNS1_9scan_implILNS1_25lookback_scan_determinismE0ELb1ELb1ES3_N6thrust23THRUST_200600_302600_NS6detail15normal_iteratorINS9_10device_ptrIKfEEEENSB_INSC_IfEEEEfNS9_4plusIvEEfEEDaPvRmT3_T4_T5_mT6_P12ihipStream_tbENKUlT_T0_E_clISt17integral_constantIbLb1EESW_IbLb0EEEEDaSS_ST_EUlSS_E_NS1_11comp_targetILNS1_3genE3ELNS1_11target_archE908ELNS1_3gpuE7ELNS1_3repE0EEENS1_30default_config_static_selectorELNS0_4arch9wavefront6targetE1EEEvT1_,comdat
.Lfunc_end51:
	.size	_ZN7rocprim17ROCPRIM_400000_NS6detail17trampoline_kernelINS0_14default_configENS1_20scan_config_selectorIfEEZZNS1_9scan_implILNS1_25lookback_scan_determinismE0ELb1ELb1ES3_N6thrust23THRUST_200600_302600_NS6detail15normal_iteratorINS9_10device_ptrIKfEEEENSB_INSC_IfEEEEfNS9_4plusIvEEfEEDaPvRmT3_T4_T5_mT6_P12ihipStream_tbENKUlT_T0_E_clISt17integral_constantIbLb1EESW_IbLb0EEEEDaSS_ST_EUlSS_E_NS1_11comp_targetILNS1_3genE3ELNS1_11target_archE908ELNS1_3gpuE7ELNS1_3repE0EEENS1_30default_config_static_selectorELNS0_4arch9wavefront6targetE1EEEvT1_, .Lfunc_end51-_ZN7rocprim17ROCPRIM_400000_NS6detail17trampoline_kernelINS0_14default_configENS1_20scan_config_selectorIfEEZZNS1_9scan_implILNS1_25lookback_scan_determinismE0ELb1ELb1ES3_N6thrust23THRUST_200600_302600_NS6detail15normal_iteratorINS9_10device_ptrIKfEEEENSB_INSC_IfEEEEfNS9_4plusIvEEfEEDaPvRmT3_T4_T5_mT6_P12ihipStream_tbENKUlT_T0_E_clISt17integral_constantIbLb1EESW_IbLb0EEEEDaSS_ST_EUlSS_E_NS1_11comp_targetILNS1_3genE3ELNS1_11target_archE908ELNS1_3gpuE7ELNS1_3repE0EEENS1_30default_config_static_selectorELNS0_4arch9wavefront6targetE1EEEvT1_
                                        ; -- End function
	.section	.AMDGPU.csdata,"",@progbits
; Kernel info:
; codeLenInByte = 0
; NumSgprs: 6
; NumVgprs: 0
; NumAgprs: 0
; TotalNumVgprs: 0
; ScratchSize: 0
; MemoryBound: 0
; FloatMode: 240
; IeeeMode: 1
; LDSByteSize: 0 bytes/workgroup (compile time only)
; SGPRBlocks: 0
; VGPRBlocks: 0
; NumSGPRsForWavesPerEU: 6
; NumVGPRsForWavesPerEU: 1
; AccumOffset: 4
; Occupancy: 8
; WaveLimiterHint : 0
; COMPUTE_PGM_RSRC2:SCRATCH_EN: 0
; COMPUTE_PGM_RSRC2:USER_SGPR: 2
; COMPUTE_PGM_RSRC2:TRAP_HANDLER: 0
; COMPUTE_PGM_RSRC2:TGID_X_EN: 1
; COMPUTE_PGM_RSRC2:TGID_Y_EN: 0
; COMPUTE_PGM_RSRC2:TGID_Z_EN: 0
; COMPUTE_PGM_RSRC2:TIDIG_COMP_CNT: 0
; COMPUTE_PGM_RSRC3_GFX90A:ACCUM_OFFSET: 0
; COMPUTE_PGM_RSRC3_GFX90A:TG_SPLIT: 0
	.section	.text._ZN7rocprim17ROCPRIM_400000_NS6detail17trampoline_kernelINS0_14default_configENS1_20scan_config_selectorIfEEZZNS1_9scan_implILNS1_25lookback_scan_determinismE0ELb1ELb1ES3_N6thrust23THRUST_200600_302600_NS6detail15normal_iteratorINS9_10device_ptrIKfEEEENSB_INSC_IfEEEEfNS9_4plusIvEEfEEDaPvRmT3_T4_T5_mT6_P12ihipStream_tbENKUlT_T0_E_clISt17integral_constantIbLb1EESW_IbLb0EEEEDaSS_ST_EUlSS_E_NS1_11comp_targetILNS1_3genE2ELNS1_11target_archE906ELNS1_3gpuE6ELNS1_3repE0EEENS1_30default_config_static_selectorELNS0_4arch9wavefront6targetE1EEEvT1_,"axG",@progbits,_ZN7rocprim17ROCPRIM_400000_NS6detail17trampoline_kernelINS0_14default_configENS1_20scan_config_selectorIfEEZZNS1_9scan_implILNS1_25lookback_scan_determinismE0ELb1ELb1ES3_N6thrust23THRUST_200600_302600_NS6detail15normal_iteratorINS9_10device_ptrIKfEEEENSB_INSC_IfEEEEfNS9_4plusIvEEfEEDaPvRmT3_T4_T5_mT6_P12ihipStream_tbENKUlT_T0_E_clISt17integral_constantIbLb1EESW_IbLb0EEEEDaSS_ST_EUlSS_E_NS1_11comp_targetILNS1_3genE2ELNS1_11target_archE906ELNS1_3gpuE6ELNS1_3repE0EEENS1_30default_config_static_selectorELNS0_4arch9wavefront6targetE1EEEvT1_,comdat
	.protected	_ZN7rocprim17ROCPRIM_400000_NS6detail17trampoline_kernelINS0_14default_configENS1_20scan_config_selectorIfEEZZNS1_9scan_implILNS1_25lookback_scan_determinismE0ELb1ELb1ES3_N6thrust23THRUST_200600_302600_NS6detail15normal_iteratorINS9_10device_ptrIKfEEEENSB_INSC_IfEEEEfNS9_4plusIvEEfEEDaPvRmT3_T4_T5_mT6_P12ihipStream_tbENKUlT_T0_E_clISt17integral_constantIbLb1EESW_IbLb0EEEEDaSS_ST_EUlSS_E_NS1_11comp_targetILNS1_3genE2ELNS1_11target_archE906ELNS1_3gpuE6ELNS1_3repE0EEENS1_30default_config_static_selectorELNS0_4arch9wavefront6targetE1EEEvT1_ ; -- Begin function _ZN7rocprim17ROCPRIM_400000_NS6detail17trampoline_kernelINS0_14default_configENS1_20scan_config_selectorIfEEZZNS1_9scan_implILNS1_25lookback_scan_determinismE0ELb1ELb1ES3_N6thrust23THRUST_200600_302600_NS6detail15normal_iteratorINS9_10device_ptrIKfEEEENSB_INSC_IfEEEEfNS9_4plusIvEEfEEDaPvRmT3_T4_T5_mT6_P12ihipStream_tbENKUlT_T0_E_clISt17integral_constantIbLb1EESW_IbLb0EEEEDaSS_ST_EUlSS_E_NS1_11comp_targetILNS1_3genE2ELNS1_11target_archE906ELNS1_3gpuE6ELNS1_3repE0EEENS1_30default_config_static_selectorELNS0_4arch9wavefront6targetE1EEEvT1_
	.globl	_ZN7rocprim17ROCPRIM_400000_NS6detail17trampoline_kernelINS0_14default_configENS1_20scan_config_selectorIfEEZZNS1_9scan_implILNS1_25lookback_scan_determinismE0ELb1ELb1ES3_N6thrust23THRUST_200600_302600_NS6detail15normal_iteratorINS9_10device_ptrIKfEEEENSB_INSC_IfEEEEfNS9_4plusIvEEfEEDaPvRmT3_T4_T5_mT6_P12ihipStream_tbENKUlT_T0_E_clISt17integral_constantIbLb1EESW_IbLb0EEEEDaSS_ST_EUlSS_E_NS1_11comp_targetILNS1_3genE2ELNS1_11target_archE906ELNS1_3gpuE6ELNS1_3repE0EEENS1_30default_config_static_selectorELNS0_4arch9wavefront6targetE1EEEvT1_
	.p2align	8
	.type	_ZN7rocprim17ROCPRIM_400000_NS6detail17trampoline_kernelINS0_14default_configENS1_20scan_config_selectorIfEEZZNS1_9scan_implILNS1_25lookback_scan_determinismE0ELb1ELb1ES3_N6thrust23THRUST_200600_302600_NS6detail15normal_iteratorINS9_10device_ptrIKfEEEENSB_INSC_IfEEEEfNS9_4plusIvEEfEEDaPvRmT3_T4_T5_mT6_P12ihipStream_tbENKUlT_T0_E_clISt17integral_constantIbLb1EESW_IbLb0EEEEDaSS_ST_EUlSS_E_NS1_11comp_targetILNS1_3genE2ELNS1_11target_archE906ELNS1_3gpuE6ELNS1_3repE0EEENS1_30default_config_static_selectorELNS0_4arch9wavefront6targetE1EEEvT1_,@function
_ZN7rocprim17ROCPRIM_400000_NS6detail17trampoline_kernelINS0_14default_configENS1_20scan_config_selectorIfEEZZNS1_9scan_implILNS1_25lookback_scan_determinismE0ELb1ELb1ES3_N6thrust23THRUST_200600_302600_NS6detail15normal_iteratorINS9_10device_ptrIKfEEEENSB_INSC_IfEEEEfNS9_4plusIvEEfEEDaPvRmT3_T4_T5_mT6_P12ihipStream_tbENKUlT_T0_E_clISt17integral_constantIbLb1EESW_IbLb0EEEEDaSS_ST_EUlSS_E_NS1_11comp_targetILNS1_3genE2ELNS1_11target_archE906ELNS1_3gpuE6ELNS1_3repE0EEENS1_30default_config_static_selectorELNS0_4arch9wavefront6targetE1EEEvT1_: ; @_ZN7rocprim17ROCPRIM_400000_NS6detail17trampoline_kernelINS0_14default_configENS1_20scan_config_selectorIfEEZZNS1_9scan_implILNS1_25lookback_scan_determinismE0ELb1ELb1ES3_N6thrust23THRUST_200600_302600_NS6detail15normal_iteratorINS9_10device_ptrIKfEEEENSB_INSC_IfEEEEfNS9_4plusIvEEfEEDaPvRmT3_T4_T5_mT6_P12ihipStream_tbENKUlT_T0_E_clISt17integral_constantIbLb1EESW_IbLb0EEEEDaSS_ST_EUlSS_E_NS1_11comp_targetILNS1_3genE2ELNS1_11target_archE906ELNS1_3gpuE6ELNS1_3repE0EEENS1_30default_config_static_selectorELNS0_4arch9wavefront6targetE1EEEvT1_
; %bb.0:
	.section	.rodata,"a",@progbits
	.p2align	6, 0x0
	.amdhsa_kernel _ZN7rocprim17ROCPRIM_400000_NS6detail17trampoline_kernelINS0_14default_configENS1_20scan_config_selectorIfEEZZNS1_9scan_implILNS1_25lookback_scan_determinismE0ELb1ELb1ES3_N6thrust23THRUST_200600_302600_NS6detail15normal_iteratorINS9_10device_ptrIKfEEEENSB_INSC_IfEEEEfNS9_4plusIvEEfEEDaPvRmT3_T4_T5_mT6_P12ihipStream_tbENKUlT_T0_E_clISt17integral_constantIbLb1EESW_IbLb0EEEEDaSS_ST_EUlSS_E_NS1_11comp_targetILNS1_3genE2ELNS1_11target_archE906ELNS1_3gpuE6ELNS1_3repE0EEENS1_30default_config_static_selectorELNS0_4arch9wavefront6targetE1EEEvT1_
		.amdhsa_group_segment_fixed_size 0
		.amdhsa_private_segment_fixed_size 0
		.amdhsa_kernarg_size 96
		.amdhsa_user_sgpr_count 2
		.amdhsa_user_sgpr_dispatch_ptr 0
		.amdhsa_user_sgpr_queue_ptr 0
		.amdhsa_user_sgpr_kernarg_segment_ptr 1
		.amdhsa_user_sgpr_dispatch_id 0
		.amdhsa_user_sgpr_kernarg_preload_length 0
		.amdhsa_user_sgpr_kernarg_preload_offset 0
		.amdhsa_user_sgpr_private_segment_size 0
		.amdhsa_uses_dynamic_stack 0
		.amdhsa_enable_private_segment 0
		.amdhsa_system_sgpr_workgroup_id_x 1
		.amdhsa_system_sgpr_workgroup_id_y 0
		.amdhsa_system_sgpr_workgroup_id_z 0
		.amdhsa_system_sgpr_workgroup_info 0
		.amdhsa_system_vgpr_workitem_id 0
		.amdhsa_next_free_vgpr 1
		.amdhsa_next_free_sgpr 0
		.amdhsa_accum_offset 4
		.amdhsa_reserve_vcc 0
		.amdhsa_float_round_mode_32 0
		.amdhsa_float_round_mode_16_64 0
		.amdhsa_float_denorm_mode_32 3
		.amdhsa_float_denorm_mode_16_64 3
		.amdhsa_dx10_clamp 1
		.amdhsa_ieee_mode 1
		.amdhsa_fp16_overflow 0
		.amdhsa_tg_split 0
		.amdhsa_exception_fp_ieee_invalid_op 0
		.amdhsa_exception_fp_denorm_src 0
		.amdhsa_exception_fp_ieee_div_zero 0
		.amdhsa_exception_fp_ieee_overflow 0
		.amdhsa_exception_fp_ieee_underflow 0
		.amdhsa_exception_fp_ieee_inexact 0
		.amdhsa_exception_int_div_zero 0
	.end_amdhsa_kernel
	.section	.text._ZN7rocprim17ROCPRIM_400000_NS6detail17trampoline_kernelINS0_14default_configENS1_20scan_config_selectorIfEEZZNS1_9scan_implILNS1_25lookback_scan_determinismE0ELb1ELb1ES3_N6thrust23THRUST_200600_302600_NS6detail15normal_iteratorINS9_10device_ptrIKfEEEENSB_INSC_IfEEEEfNS9_4plusIvEEfEEDaPvRmT3_T4_T5_mT6_P12ihipStream_tbENKUlT_T0_E_clISt17integral_constantIbLb1EESW_IbLb0EEEEDaSS_ST_EUlSS_E_NS1_11comp_targetILNS1_3genE2ELNS1_11target_archE906ELNS1_3gpuE6ELNS1_3repE0EEENS1_30default_config_static_selectorELNS0_4arch9wavefront6targetE1EEEvT1_,"axG",@progbits,_ZN7rocprim17ROCPRIM_400000_NS6detail17trampoline_kernelINS0_14default_configENS1_20scan_config_selectorIfEEZZNS1_9scan_implILNS1_25lookback_scan_determinismE0ELb1ELb1ES3_N6thrust23THRUST_200600_302600_NS6detail15normal_iteratorINS9_10device_ptrIKfEEEENSB_INSC_IfEEEEfNS9_4plusIvEEfEEDaPvRmT3_T4_T5_mT6_P12ihipStream_tbENKUlT_T0_E_clISt17integral_constantIbLb1EESW_IbLb0EEEEDaSS_ST_EUlSS_E_NS1_11comp_targetILNS1_3genE2ELNS1_11target_archE906ELNS1_3gpuE6ELNS1_3repE0EEENS1_30default_config_static_selectorELNS0_4arch9wavefront6targetE1EEEvT1_,comdat
.Lfunc_end52:
	.size	_ZN7rocprim17ROCPRIM_400000_NS6detail17trampoline_kernelINS0_14default_configENS1_20scan_config_selectorIfEEZZNS1_9scan_implILNS1_25lookback_scan_determinismE0ELb1ELb1ES3_N6thrust23THRUST_200600_302600_NS6detail15normal_iteratorINS9_10device_ptrIKfEEEENSB_INSC_IfEEEEfNS9_4plusIvEEfEEDaPvRmT3_T4_T5_mT6_P12ihipStream_tbENKUlT_T0_E_clISt17integral_constantIbLb1EESW_IbLb0EEEEDaSS_ST_EUlSS_E_NS1_11comp_targetILNS1_3genE2ELNS1_11target_archE906ELNS1_3gpuE6ELNS1_3repE0EEENS1_30default_config_static_selectorELNS0_4arch9wavefront6targetE1EEEvT1_, .Lfunc_end52-_ZN7rocprim17ROCPRIM_400000_NS6detail17trampoline_kernelINS0_14default_configENS1_20scan_config_selectorIfEEZZNS1_9scan_implILNS1_25lookback_scan_determinismE0ELb1ELb1ES3_N6thrust23THRUST_200600_302600_NS6detail15normal_iteratorINS9_10device_ptrIKfEEEENSB_INSC_IfEEEEfNS9_4plusIvEEfEEDaPvRmT3_T4_T5_mT6_P12ihipStream_tbENKUlT_T0_E_clISt17integral_constantIbLb1EESW_IbLb0EEEEDaSS_ST_EUlSS_E_NS1_11comp_targetILNS1_3genE2ELNS1_11target_archE906ELNS1_3gpuE6ELNS1_3repE0EEENS1_30default_config_static_selectorELNS0_4arch9wavefront6targetE1EEEvT1_
                                        ; -- End function
	.section	.AMDGPU.csdata,"",@progbits
; Kernel info:
; codeLenInByte = 0
; NumSgprs: 6
; NumVgprs: 0
; NumAgprs: 0
; TotalNumVgprs: 0
; ScratchSize: 0
; MemoryBound: 0
; FloatMode: 240
; IeeeMode: 1
; LDSByteSize: 0 bytes/workgroup (compile time only)
; SGPRBlocks: 0
; VGPRBlocks: 0
; NumSGPRsForWavesPerEU: 6
; NumVGPRsForWavesPerEU: 1
; AccumOffset: 4
; Occupancy: 8
; WaveLimiterHint : 0
; COMPUTE_PGM_RSRC2:SCRATCH_EN: 0
; COMPUTE_PGM_RSRC2:USER_SGPR: 2
; COMPUTE_PGM_RSRC2:TRAP_HANDLER: 0
; COMPUTE_PGM_RSRC2:TGID_X_EN: 1
; COMPUTE_PGM_RSRC2:TGID_Y_EN: 0
; COMPUTE_PGM_RSRC2:TGID_Z_EN: 0
; COMPUTE_PGM_RSRC2:TIDIG_COMP_CNT: 0
; COMPUTE_PGM_RSRC3_GFX90A:ACCUM_OFFSET: 0
; COMPUTE_PGM_RSRC3_GFX90A:TG_SPLIT: 0
	.section	.text._ZN7rocprim17ROCPRIM_400000_NS6detail17trampoline_kernelINS0_14default_configENS1_20scan_config_selectorIfEEZZNS1_9scan_implILNS1_25lookback_scan_determinismE0ELb1ELb1ES3_N6thrust23THRUST_200600_302600_NS6detail15normal_iteratorINS9_10device_ptrIKfEEEENSB_INSC_IfEEEEfNS9_4plusIvEEfEEDaPvRmT3_T4_T5_mT6_P12ihipStream_tbENKUlT_T0_E_clISt17integral_constantIbLb1EESW_IbLb0EEEEDaSS_ST_EUlSS_E_NS1_11comp_targetILNS1_3genE10ELNS1_11target_archE1201ELNS1_3gpuE5ELNS1_3repE0EEENS1_30default_config_static_selectorELNS0_4arch9wavefront6targetE1EEEvT1_,"axG",@progbits,_ZN7rocprim17ROCPRIM_400000_NS6detail17trampoline_kernelINS0_14default_configENS1_20scan_config_selectorIfEEZZNS1_9scan_implILNS1_25lookback_scan_determinismE0ELb1ELb1ES3_N6thrust23THRUST_200600_302600_NS6detail15normal_iteratorINS9_10device_ptrIKfEEEENSB_INSC_IfEEEEfNS9_4plusIvEEfEEDaPvRmT3_T4_T5_mT6_P12ihipStream_tbENKUlT_T0_E_clISt17integral_constantIbLb1EESW_IbLb0EEEEDaSS_ST_EUlSS_E_NS1_11comp_targetILNS1_3genE10ELNS1_11target_archE1201ELNS1_3gpuE5ELNS1_3repE0EEENS1_30default_config_static_selectorELNS0_4arch9wavefront6targetE1EEEvT1_,comdat
	.protected	_ZN7rocprim17ROCPRIM_400000_NS6detail17trampoline_kernelINS0_14default_configENS1_20scan_config_selectorIfEEZZNS1_9scan_implILNS1_25lookback_scan_determinismE0ELb1ELb1ES3_N6thrust23THRUST_200600_302600_NS6detail15normal_iteratorINS9_10device_ptrIKfEEEENSB_INSC_IfEEEEfNS9_4plusIvEEfEEDaPvRmT3_T4_T5_mT6_P12ihipStream_tbENKUlT_T0_E_clISt17integral_constantIbLb1EESW_IbLb0EEEEDaSS_ST_EUlSS_E_NS1_11comp_targetILNS1_3genE10ELNS1_11target_archE1201ELNS1_3gpuE5ELNS1_3repE0EEENS1_30default_config_static_selectorELNS0_4arch9wavefront6targetE1EEEvT1_ ; -- Begin function _ZN7rocprim17ROCPRIM_400000_NS6detail17trampoline_kernelINS0_14default_configENS1_20scan_config_selectorIfEEZZNS1_9scan_implILNS1_25lookback_scan_determinismE0ELb1ELb1ES3_N6thrust23THRUST_200600_302600_NS6detail15normal_iteratorINS9_10device_ptrIKfEEEENSB_INSC_IfEEEEfNS9_4plusIvEEfEEDaPvRmT3_T4_T5_mT6_P12ihipStream_tbENKUlT_T0_E_clISt17integral_constantIbLb1EESW_IbLb0EEEEDaSS_ST_EUlSS_E_NS1_11comp_targetILNS1_3genE10ELNS1_11target_archE1201ELNS1_3gpuE5ELNS1_3repE0EEENS1_30default_config_static_selectorELNS0_4arch9wavefront6targetE1EEEvT1_
	.globl	_ZN7rocprim17ROCPRIM_400000_NS6detail17trampoline_kernelINS0_14default_configENS1_20scan_config_selectorIfEEZZNS1_9scan_implILNS1_25lookback_scan_determinismE0ELb1ELb1ES3_N6thrust23THRUST_200600_302600_NS6detail15normal_iteratorINS9_10device_ptrIKfEEEENSB_INSC_IfEEEEfNS9_4plusIvEEfEEDaPvRmT3_T4_T5_mT6_P12ihipStream_tbENKUlT_T0_E_clISt17integral_constantIbLb1EESW_IbLb0EEEEDaSS_ST_EUlSS_E_NS1_11comp_targetILNS1_3genE10ELNS1_11target_archE1201ELNS1_3gpuE5ELNS1_3repE0EEENS1_30default_config_static_selectorELNS0_4arch9wavefront6targetE1EEEvT1_
	.p2align	8
	.type	_ZN7rocprim17ROCPRIM_400000_NS6detail17trampoline_kernelINS0_14default_configENS1_20scan_config_selectorIfEEZZNS1_9scan_implILNS1_25lookback_scan_determinismE0ELb1ELb1ES3_N6thrust23THRUST_200600_302600_NS6detail15normal_iteratorINS9_10device_ptrIKfEEEENSB_INSC_IfEEEEfNS9_4plusIvEEfEEDaPvRmT3_T4_T5_mT6_P12ihipStream_tbENKUlT_T0_E_clISt17integral_constantIbLb1EESW_IbLb0EEEEDaSS_ST_EUlSS_E_NS1_11comp_targetILNS1_3genE10ELNS1_11target_archE1201ELNS1_3gpuE5ELNS1_3repE0EEENS1_30default_config_static_selectorELNS0_4arch9wavefront6targetE1EEEvT1_,@function
_ZN7rocprim17ROCPRIM_400000_NS6detail17trampoline_kernelINS0_14default_configENS1_20scan_config_selectorIfEEZZNS1_9scan_implILNS1_25lookback_scan_determinismE0ELb1ELb1ES3_N6thrust23THRUST_200600_302600_NS6detail15normal_iteratorINS9_10device_ptrIKfEEEENSB_INSC_IfEEEEfNS9_4plusIvEEfEEDaPvRmT3_T4_T5_mT6_P12ihipStream_tbENKUlT_T0_E_clISt17integral_constantIbLb1EESW_IbLb0EEEEDaSS_ST_EUlSS_E_NS1_11comp_targetILNS1_3genE10ELNS1_11target_archE1201ELNS1_3gpuE5ELNS1_3repE0EEENS1_30default_config_static_selectorELNS0_4arch9wavefront6targetE1EEEvT1_: ; @_ZN7rocprim17ROCPRIM_400000_NS6detail17trampoline_kernelINS0_14default_configENS1_20scan_config_selectorIfEEZZNS1_9scan_implILNS1_25lookback_scan_determinismE0ELb1ELb1ES3_N6thrust23THRUST_200600_302600_NS6detail15normal_iteratorINS9_10device_ptrIKfEEEENSB_INSC_IfEEEEfNS9_4plusIvEEfEEDaPvRmT3_T4_T5_mT6_P12ihipStream_tbENKUlT_T0_E_clISt17integral_constantIbLb1EESW_IbLb0EEEEDaSS_ST_EUlSS_E_NS1_11comp_targetILNS1_3genE10ELNS1_11target_archE1201ELNS1_3gpuE5ELNS1_3repE0EEENS1_30default_config_static_selectorELNS0_4arch9wavefront6targetE1EEEvT1_
; %bb.0:
	.section	.rodata,"a",@progbits
	.p2align	6, 0x0
	.amdhsa_kernel _ZN7rocprim17ROCPRIM_400000_NS6detail17trampoline_kernelINS0_14default_configENS1_20scan_config_selectorIfEEZZNS1_9scan_implILNS1_25lookback_scan_determinismE0ELb1ELb1ES3_N6thrust23THRUST_200600_302600_NS6detail15normal_iteratorINS9_10device_ptrIKfEEEENSB_INSC_IfEEEEfNS9_4plusIvEEfEEDaPvRmT3_T4_T5_mT6_P12ihipStream_tbENKUlT_T0_E_clISt17integral_constantIbLb1EESW_IbLb0EEEEDaSS_ST_EUlSS_E_NS1_11comp_targetILNS1_3genE10ELNS1_11target_archE1201ELNS1_3gpuE5ELNS1_3repE0EEENS1_30default_config_static_selectorELNS0_4arch9wavefront6targetE1EEEvT1_
		.amdhsa_group_segment_fixed_size 0
		.amdhsa_private_segment_fixed_size 0
		.amdhsa_kernarg_size 96
		.amdhsa_user_sgpr_count 2
		.amdhsa_user_sgpr_dispatch_ptr 0
		.amdhsa_user_sgpr_queue_ptr 0
		.amdhsa_user_sgpr_kernarg_segment_ptr 1
		.amdhsa_user_sgpr_dispatch_id 0
		.amdhsa_user_sgpr_kernarg_preload_length 0
		.amdhsa_user_sgpr_kernarg_preload_offset 0
		.amdhsa_user_sgpr_private_segment_size 0
		.amdhsa_uses_dynamic_stack 0
		.amdhsa_enable_private_segment 0
		.amdhsa_system_sgpr_workgroup_id_x 1
		.amdhsa_system_sgpr_workgroup_id_y 0
		.amdhsa_system_sgpr_workgroup_id_z 0
		.amdhsa_system_sgpr_workgroup_info 0
		.amdhsa_system_vgpr_workitem_id 0
		.amdhsa_next_free_vgpr 1
		.amdhsa_next_free_sgpr 0
		.amdhsa_accum_offset 4
		.amdhsa_reserve_vcc 0
		.amdhsa_float_round_mode_32 0
		.amdhsa_float_round_mode_16_64 0
		.amdhsa_float_denorm_mode_32 3
		.amdhsa_float_denorm_mode_16_64 3
		.amdhsa_dx10_clamp 1
		.amdhsa_ieee_mode 1
		.amdhsa_fp16_overflow 0
		.amdhsa_tg_split 0
		.amdhsa_exception_fp_ieee_invalid_op 0
		.amdhsa_exception_fp_denorm_src 0
		.amdhsa_exception_fp_ieee_div_zero 0
		.amdhsa_exception_fp_ieee_overflow 0
		.amdhsa_exception_fp_ieee_underflow 0
		.amdhsa_exception_fp_ieee_inexact 0
		.amdhsa_exception_int_div_zero 0
	.end_amdhsa_kernel
	.section	.text._ZN7rocprim17ROCPRIM_400000_NS6detail17trampoline_kernelINS0_14default_configENS1_20scan_config_selectorIfEEZZNS1_9scan_implILNS1_25lookback_scan_determinismE0ELb1ELb1ES3_N6thrust23THRUST_200600_302600_NS6detail15normal_iteratorINS9_10device_ptrIKfEEEENSB_INSC_IfEEEEfNS9_4plusIvEEfEEDaPvRmT3_T4_T5_mT6_P12ihipStream_tbENKUlT_T0_E_clISt17integral_constantIbLb1EESW_IbLb0EEEEDaSS_ST_EUlSS_E_NS1_11comp_targetILNS1_3genE10ELNS1_11target_archE1201ELNS1_3gpuE5ELNS1_3repE0EEENS1_30default_config_static_selectorELNS0_4arch9wavefront6targetE1EEEvT1_,"axG",@progbits,_ZN7rocprim17ROCPRIM_400000_NS6detail17trampoline_kernelINS0_14default_configENS1_20scan_config_selectorIfEEZZNS1_9scan_implILNS1_25lookback_scan_determinismE0ELb1ELb1ES3_N6thrust23THRUST_200600_302600_NS6detail15normal_iteratorINS9_10device_ptrIKfEEEENSB_INSC_IfEEEEfNS9_4plusIvEEfEEDaPvRmT3_T4_T5_mT6_P12ihipStream_tbENKUlT_T0_E_clISt17integral_constantIbLb1EESW_IbLb0EEEEDaSS_ST_EUlSS_E_NS1_11comp_targetILNS1_3genE10ELNS1_11target_archE1201ELNS1_3gpuE5ELNS1_3repE0EEENS1_30default_config_static_selectorELNS0_4arch9wavefront6targetE1EEEvT1_,comdat
.Lfunc_end53:
	.size	_ZN7rocprim17ROCPRIM_400000_NS6detail17trampoline_kernelINS0_14default_configENS1_20scan_config_selectorIfEEZZNS1_9scan_implILNS1_25lookback_scan_determinismE0ELb1ELb1ES3_N6thrust23THRUST_200600_302600_NS6detail15normal_iteratorINS9_10device_ptrIKfEEEENSB_INSC_IfEEEEfNS9_4plusIvEEfEEDaPvRmT3_T4_T5_mT6_P12ihipStream_tbENKUlT_T0_E_clISt17integral_constantIbLb1EESW_IbLb0EEEEDaSS_ST_EUlSS_E_NS1_11comp_targetILNS1_3genE10ELNS1_11target_archE1201ELNS1_3gpuE5ELNS1_3repE0EEENS1_30default_config_static_selectorELNS0_4arch9wavefront6targetE1EEEvT1_, .Lfunc_end53-_ZN7rocprim17ROCPRIM_400000_NS6detail17trampoline_kernelINS0_14default_configENS1_20scan_config_selectorIfEEZZNS1_9scan_implILNS1_25lookback_scan_determinismE0ELb1ELb1ES3_N6thrust23THRUST_200600_302600_NS6detail15normal_iteratorINS9_10device_ptrIKfEEEENSB_INSC_IfEEEEfNS9_4plusIvEEfEEDaPvRmT3_T4_T5_mT6_P12ihipStream_tbENKUlT_T0_E_clISt17integral_constantIbLb1EESW_IbLb0EEEEDaSS_ST_EUlSS_E_NS1_11comp_targetILNS1_3genE10ELNS1_11target_archE1201ELNS1_3gpuE5ELNS1_3repE0EEENS1_30default_config_static_selectorELNS0_4arch9wavefront6targetE1EEEvT1_
                                        ; -- End function
	.section	.AMDGPU.csdata,"",@progbits
; Kernel info:
; codeLenInByte = 0
; NumSgprs: 6
; NumVgprs: 0
; NumAgprs: 0
; TotalNumVgprs: 0
; ScratchSize: 0
; MemoryBound: 0
; FloatMode: 240
; IeeeMode: 1
; LDSByteSize: 0 bytes/workgroup (compile time only)
; SGPRBlocks: 0
; VGPRBlocks: 0
; NumSGPRsForWavesPerEU: 6
; NumVGPRsForWavesPerEU: 1
; AccumOffset: 4
; Occupancy: 8
; WaveLimiterHint : 0
; COMPUTE_PGM_RSRC2:SCRATCH_EN: 0
; COMPUTE_PGM_RSRC2:USER_SGPR: 2
; COMPUTE_PGM_RSRC2:TRAP_HANDLER: 0
; COMPUTE_PGM_RSRC2:TGID_X_EN: 1
; COMPUTE_PGM_RSRC2:TGID_Y_EN: 0
; COMPUTE_PGM_RSRC2:TGID_Z_EN: 0
; COMPUTE_PGM_RSRC2:TIDIG_COMP_CNT: 0
; COMPUTE_PGM_RSRC3_GFX90A:ACCUM_OFFSET: 0
; COMPUTE_PGM_RSRC3_GFX90A:TG_SPLIT: 0
	.section	.text._ZN7rocprim17ROCPRIM_400000_NS6detail17trampoline_kernelINS0_14default_configENS1_20scan_config_selectorIfEEZZNS1_9scan_implILNS1_25lookback_scan_determinismE0ELb1ELb1ES3_N6thrust23THRUST_200600_302600_NS6detail15normal_iteratorINS9_10device_ptrIKfEEEENSB_INSC_IfEEEEfNS9_4plusIvEEfEEDaPvRmT3_T4_T5_mT6_P12ihipStream_tbENKUlT_T0_E_clISt17integral_constantIbLb1EESW_IbLb0EEEEDaSS_ST_EUlSS_E_NS1_11comp_targetILNS1_3genE10ELNS1_11target_archE1200ELNS1_3gpuE4ELNS1_3repE0EEENS1_30default_config_static_selectorELNS0_4arch9wavefront6targetE1EEEvT1_,"axG",@progbits,_ZN7rocprim17ROCPRIM_400000_NS6detail17trampoline_kernelINS0_14default_configENS1_20scan_config_selectorIfEEZZNS1_9scan_implILNS1_25lookback_scan_determinismE0ELb1ELb1ES3_N6thrust23THRUST_200600_302600_NS6detail15normal_iteratorINS9_10device_ptrIKfEEEENSB_INSC_IfEEEEfNS9_4plusIvEEfEEDaPvRmT3_T4_T5_mT6_P12ihipStream_tbENKUlT_T0_E_clISt17integral_constantIbLb1EESW_IbLb0EEEEDaSS_ST_EUlSS_E_NS1_11comp_targetILNS1_3genE10ELNS1_11target_archE1200ELNS1_3gpuE4ELNS1_3repE0EEENS1_30default_config_static_selectorELNS0_4arch9wavefront6targetE1EEEvT1_,comdat
	.protected	_ZN7rocprim17ROCPRIM_400000_NS6detail17trampoline_kernelINS0_14default_configENS1_20scan_config_selectorIfEEZZNS1_9scan_implILNS1_25lookback_scan_determinismE0ELb1ELb1ES3_N6thrust23THRUST_200600_302600_NS6detail15normal_iteratorINS9_10device_ptrIKfEEEENSB_INSC_IfEEEEfNS9_4plusIvEEfEEDaPvRmT3_T4_T5_mT6_P12ihipStream_tbENKUlT_T0_E_clISt17integral_constantIbLb1EESW_IbLb0EEEEDaSS_ST_EUlSS_E_NS1_11comp_targetILNS1_3genE10ELNS1_11target_archE1200ELNS1_3gpuE4ELNS1_3repE0EEENS1_30default_config_static_selectorELNS0_4arch9wavefront6targetE1EEEvT1_ ; -- Begin function _ZN7rocprim17ROCPRIM_400000_NS6detail17trampoline_kernelINS0_14default_configENS1_20scan_config_selectorIfEEZZNS1_9scan_implILNS1_25lookback_scan_determinismE0ELb1ELb1ES3_N6thrust23THRUST_200600_302600_NS6detail15normal_iteratorINS9_10device_ptrIKfEEEENSB_INSC_IfEEEEfNS9_4plusIvEEfEEDaPvRmT3_T4_T5_mT6_P12ihipStream_tbENKUlT_T0_E_clISt17integral_constantIbLb1EESW_IbLb0EEEEDaSS_ST_EUlSS_E_NS1_11comp_targetILNS1_3genE10ELNS1_11target_archE1200ELNS1_3gpuE4ELNS1_3repE0EEENS1_30default_config_static_selectorELNS0_4arch9wavefront6targetE1EEEvT1_
	.globl	_ZN7rocprim17ROCPRIM_400000_NS6detail17trampoline_kernelINS0_14default_configENS1_20scan_config_selectorIfEEZZNS1_9scan_implILNS1_25lookback_scan_determinismE0ELb1ELb1ES3_N6thrust23THRUST_200600_302600_NS6detail15normal_iteratorINS9_10device_ptrIKfEEEENSB_INSC_IfEEEEfNS9_4plusIvEEfEEDaPvRmT3_T4_T5_mT6_P12ihipStream_tbENKUlT_T0_E_clISt17integral_constantIbLb1EESW_IbLb0EEEEDaSS_ST_EUlSS_E_NS1_11comp_targetILNS1_3genE10ELNS1_11target_archE1200ELNS1_3gpuE4ELNS1_3repE0EEENS1_30default_config_static_selectorELNS0_4arch9wavefront6targetE1EEEvT1_
	.p2align	8
	.type	_ZN7rocprim17ROCPRIM_400000_NS6detail17trampoline_kernelINS0_14default_configENS1_20scan_config_selectorIfEEZZNS1_9scan_implILNS1_25lookback_scan_determinismE0ELb1ELb1ES3_N6thrust23THRUST_200600_302600_NS6detail15normal_iteratorINS9_10device_ptrIKfEEEENSB_INSC_IfEEEEfNS9_4plusIvEEfEEDaPvRmT3_T4_T5_mT6_P12ihipStream_tbENKUlT_T0_E_clISt17integral_constantIbLb1EESW_IbLb0EEEEDaSS_ST_EUlSS_E_NS1_11comp_targetILNS1_3genE10ELNS1_11target_archE1200ELNS1_3gpuE4ELNS1_3repE0EEENS1_30default_config_static_selectorELNS0_4arch9wavefront6targetE1EEEvT1_,@function
_ZN7rocprim17ROCPRIM_400000_NS6detail17trampoline_kernelINS0_14default_configENS1_20scan_config_selectorIfEEZZNS1_9scan_implILNS1_25lookback_scan_determinismE0ELb1ELb1ES3_N6thrust23THRUST_200600_302600_NS6detail15normal_iteratorINS9_10device_ptrIKfEEEENSB_INSC_IfEEEEfNS9_4plusIvEEfEEDaPvRmT3_T4_T5_mT6_P12ihipStream_tbENKUlT_T0_E_clISt17integral_constantIbLb1EESW_IbLb0EEEEDaSS_ST_EUlSS_E_NS1_11comp_targetILNS1_3genE10ELNS1_11target_archE1200ELNS1_3gpuE4ELNS1_3repE0EEENS1_30default_config_static_selectorELNS0_4arch9wavefront6targetE1EEEvT1_: ; @_ZN7rocprim17ROCPRIM_400000_NS6detail17trampoline_kernelINS0_14default_configENS1_20scan_config_selectorIfEEZZNS1_9scan_implILNS1_25lookback_scan_determinismE0ELb1ELb1ES3_N6thrust23THRUST_200600_302600_NS6detail15normal_iteratorINS9_10device_ptrIKfEEEENSB_INSC_IfEEEEfNS9_4plusIvEEfEEDaPvRmT3_T4_T5_mT6_P12ihipStream_tbENKUlT_T0_E_clISt17integral_constantIbLb1EESW_IbLb0EEEEDaSS_ST_EUlSS_E_NS1_11comp_targetILNS1_3genE10ELNS1_11target_archE1200ELNS1_3gpuE4ELNS1_3repE0EEENS1_30default_config_static_selectorELNS0_4arch9wavefront6targetE1EEEvT1_
; %bb.0:
	.section	.rodata,"a",@progbits
	.p2align	6, 0x0
	.amdhsa_kernel _ZN7rocprim17ROCPRIM_400000_NS6detail17trampoline_kernelINS0_14default_configENS1_20scan_config_selectorIfEEZZNS1_9scan_implILNS1_25lookback_scan_determinismE0ELb1ELb1ES3_N6thrust23THRUST_200600_302600_NS6detail15normal_iteratorINS9_10device_ptrIKfEEEENSB_INSC_IfEEEEfNS9_4plusIvEEfEEDaPvRmT3_T4_T5_mT6_P12ihipStream_tbENKUlT_T0_E_clISt17integral_constantIbLb1EESW_IbLb0EEEEDaSS_ST_EUlSS_E_NS1_11comp_targetILNS1_3genE10ELNS1_11target_archE1200ELNS1_3gpuE4ELNS1_3repE0EEENS1_30default_config_static_selectorELNS0_4arch9wavefront6targetE1EEEvT1_
		.amdhsa_group_segment_fixed_size 0
		.amdhsa_private_segment_fixed_size 0
		.amdhsa_kernarg_size 96
		.amdhsa_user_sgpr_count 2
		.amdhsa_user_sgpr_dispatch_ptr 0
		.amdhsa_user_sgpr_queue_ptr 0
		.amdhsa_user_sgpr_kernarg_segment_ptr 1
		.amdhsa_user_sgpr_dispatch_id 0
		.amdhsa_user_sgpr_kernarg_preload_length 0
		.amdhsa_user_sgpr_kernarg_preload_offset 0
		.amdhsa_user_sgpr_private_segment_size 0
		.amdhsa_uses_dynamic_stack 0
		.amdhsa_enable_private_segment 0
		.amdhsa_system_sgpr_workgroup_id_x 1
		.amdhsa_system_sgpr_workgroup_id_y 0
		.amdhsa_system_sgpr_workgroup_id_z 0
		.amdhsa_system_sgpr_workgroup_info 0
		.amdhsa_system_vgpr_workitem_id 0
		.amdhsa_next_free_vgpr 1
		.amdhsa_next_free_sgpr 0
		.amdhsa_accum_offset 4
		.amdhsa_reserve_vcc 0
		.amdhsa_float_round_mode_32 0
		.amdhsa_float_round_mode_16_64 0
		.amdhsa_float_denorm_mode_32 3
		.amdhsa_float_denorm_mode_16_64 3
		.amdhsa_dx10_clamp 1
		.amdhsa_ieee_mode 1
		.amdhsa_fp16_overflow 0
		.amdhsa_tg_split 0
		.amdhsa_exception_fp_ieee_invalid_op 0
		.amdhsa_exception_fp_denorm_src 0
		.amdhsa_exception_fp_ieee_div_zero 0
		.amdhsa_exception_fp_ieee_overflow 0
		.amdhsa_exception_fp_ieee_underflow 0
		.amdhsa_exception_fp_ieee_inexact 0
		.amdhsa_exception_int_div_zero 0
	.end_amdhsa_kernel
	.section	.text._ZN7rocprim17ROCPRIM_400000_NS6detail17trampoline_kernelINS0_14default_configENS1_20scan_config_selectorIfEEZZNS1_9scan_implILNS1_25lookback_scan_determinismE0ELb1ELb1ES3_N6thrust23THRUST_200600_302600_NS6detail15normal_iteratorINS9_10device_ptrIKfEEEENSB_INSC_IfEEEEfNS9_4plusIvEEfEEDaPvRmT3_T4_T5_mT6_P12ihipStream_tbENKUlT_T0_E_clISt17integral_constantIbLb1EESW_IbLb0EEEEDaSS_ST_EUlSS_E_NS1_11comp_targetILNS1_3genE10ELNS1_11target_archE1200ELNS1_3gpuE4ELNS1_3repE0EEENS1_30default_config_static_selectorELNS0_4arch9wavefront6targetE1EEEvT1_,"axG",@progbits,_ZN7rocprim17ROCPRIM_400000_NS6detail17trampoline_kernelINS0_14default_configENS1_20scan_config_selectorIfEEZZNS1_9scan_implILNS1_25lookback_scan_determinismE0ELb1ELb1ES3_N6thrust23THRUST_200600_302600_NS6detail15normal_iteratorINS9_10device_ptrIKfEEEENSB_INSC_IfEEEEfNS9_4plusIvEEfEEDaPvRmT3_T4_T5_mT6_P12ihipStream_tbENKUlT_T0_E_clISt17integral_constantIbLb1EESW_IbLb0EEEEDaSS_ST_EUlSS_E_NS1_11comp_targetILNS1_3genE10ELNS1_11target_archE1200ELNS1_3gpuE4ELNS1_3repE0EEENS1_30default_config_static_selectorELNS0_4arch9wavefront6targetE1EEEvT1_,comdat
.Lfunc_end54:
	.size	_ZN7rocprim17ROCPRIM_400000_NS6detail17trampoline_kernelINS0_14default_configENS1_20scan_config_selectorIfEEZZNS1_9scan_implILNS1_25lookback_scan_determinismE0ELb1ELb1ES3_N6thrust23THRUST_200600_302600_NS6detail15normal_iteratorINS9_10device_ptrIKfEEEENSB_INSC_IfEEEEfNS9_4plusIvEEfEEDaPvRmT3_T4_T5_mT6_P12ihipStream_tbENKUlT_T0_E_clISt17integral_constantIbLb1EESW_IbLb0EEEEDaSS_ST_EUlSS_E_NS1_11comp_targetILNS1_3genE10ELNS1_11target_archE1200ELNS1_3gpuE4ELNS1_3repE0EEENS1_30default_config_static_selectorELNS0_4arch9wavefront6targetE1EEEvT1_, .Lfunc_end54-_ZN7rocprim17ROCPRIM_400000_NS6detail17trampoline_kernelINS0_14default_configENS1_20scan_config_selectorIfEEZZNS1_9scan_implILNS1_25lookback_scan_determinismE0ELb1ELb1ES3_N6thrust23THRUST_200600_302600_NS6detail15normal_iteratorINS9_10device_ptrIKfEEEENSB_INSC_IfEEEEfNS9_4plusIvEEfEEDaPvRmT3_T4_T5_mT6_P12ihipStream_tbENKUlT_T0_E_clISt17integral_constantIbLb1EESW_IbLb0EEEEDaSS_ST_EUlSS_E_NS1_11comp_targetILNS1_3genE10ELNS1_11target_archE1200ELNS1_3gpuE4ELNS1_3repE0EEENS1_30default_config_static_selectorELNS0_4arch9wavefront6targetE1EEEvT1_
                                        ; -- End function
	.section	.AMDGPU.csdata,"",@progbits
; Kernel info:
; codeLenInByte = 0
; NumSgprs: 6
; NumVgprs: 0
; NumAgprs: 0
; TotalNumVgprs: 0
; ScratchSize: 0
; MemoryBound: 0
; FloatMode: 240
; IeeeMode: 1
; LDSByteSize: 0 bytes/workgroup (compile time only)
; SGPRBlocks: 0
; VGPRBlocks: 0
; NumSGPRsForWavesPerEU: 6
; NumVGPRsForWavesPerEU: 1
; AccumOffset: 4
; Occupancy: 8
; WaveLimiterHint : 0
; COMPUTE_PGM_RSRC2:SCRATCH_EN: 0
; COMPUTE_PGM_RSRC2:USER_SGPR: 2
; COMPUTE_PGM_RSRC2:TRAP_HANDLER: 0
; COMPUTE_PGM_RSRC2:TGID_X_EN: 1
; COMPUTE_PGM_RSRC2:TGID_Y_EN: 0
; COMPUTE_PGM_RSRC2:TGID_Z_EN: 0
; COMPUTE_PGM_RSRC2:TIDIG_COMP_CNT: 0
; COMPUTE_PGM_RSRC3_GFX90A:ACCUM_OFFSET: 0
; COMPUTE_PGM_RSRC3_GFX90A:TG_SPLIT: 0
	.section	.text._ZN7rocprim17ROCPRIM_400000_NS6detail17trampoline_kernelINS0_14default_configENS1_20scan_config_selectorIfEEZZNS1_9scan_implILNS1_25lookback_scan_determinismE0ELb1ELb1ES3_N6thrust23THRUST_200600_302600_NS6detail15normal_iteratorINS9_10device_ptrIKfEEEENSB_INSC_IfEEEEfNS9_4plusIvEEfEEDaPvRmT3_T4_T5_mT6_P12ihipStream_tbENKUlT_T0_E_clISt17integral_constantIbLb1EESW_IbLb0EEEEDaSS_ST_EUlSS_E_NS1_11comp_targetILNS1_3genE9ELNS1_11target_archE1100ELNS1_3gpuE3ELNS1_3repE0EEENS1_30default_config_static_selectorELNS0_4arch9wavefront6targetE1EEEvT1_,"axG",@progbits,_ZN7rocprim17ROCPRIM_400000_NS6detail17trampoline_kernelINS0_14default_configENS1_20scan_config_selectorIfEEZZNS1_9scan_implILNS1_25lookback_scan_determinismE0ELb1ELb1ES3_N6thrust23THRUST_200600_302600_NS6detail15normal_iteratorINS9_10device_ptrIKfEEEENSB_INSC_IfEEEEfNS9_4plusIvEEfEEDaPvRmT3_T4_T5_mT6_P12ihipStream_tbENKUlT_T0_E_clISt17integral_constantIbLb1EESW_IbLb0EEEEDaSS_ST_EUlSS_E_NS1_11comp_targetILNS1_3genE9ELNS1_11target_archE1100ELNS1_3gpuE3ELNS1_3repE0EEENS1_30default_config_static_selectorELNS0_4arch9wavefront6targetE1EEEvT1_,comdat
	.protected	_ZN7rocprim17ROCPRIM_400000_NS6detail17trampoline_kernelINS0_14default_configENS1_20scan_config_selectorIfEEZZNS1_9scan_implILNS1_25lookback_scan_determinismE0ELb1ELb1ES3_N6thrust23THRUST_200600_302600_NS6detail15normal_iteratorINS9_10device_ptrIKfEEEENSB_INSC_IfEEEEfNS9_4plusIvEEfEEDaPvRmT3_T4_T5_mT6_P12ihipStream_tbENKUlT_T0_E_clISt17integral_constantIbLb1EESW_IbLb0EEEEDaSS_ST_EUlSS_E_NS1_11comp_targetILNS1_3genE9ELNS1_11target_archE1100ELNS1_3gpuE3ELNS1_3repE0EEENS1_30default_config_static_selectorELNS0_4arch9wavefront6targetE1EEEvT1_ ; -- Begin function _ZN7rocprim17ROCPRIM_400000_NS6detail17trampoline_kernelINS0_14default_configENS1_20scan_config_selectorIfEEZZNS1_9scan_implILNS1_25lookback_scan_determinismE0ELb1ELb1ES3_N6thrust23THRUST_200600_302600_NS6detail15normal_iteratorINS9_10device_ptrIKfEEEENSB_INSC_IfEEEEfNS9_4plusIvEEfEEDaPvRmT3_T4_T5_mT6_P12ihipStream_tbENKUlT_T0_E_clISt17integral_constantIbLb1EESW_IbLb0EEEEDaSS_ST_EUlSS_E_NS1_11comp_targetILNS1_3genE9ELNS1_11target_archE1100ELNS1_3gpuE3ELNS1_3repE0EEENS1_30default_config_static_selectorELNS0_4arch9wavefront6targetE1EEEvT1_
	.globl	_ZN7rocprim17ROCPRIM_400000_NS6detail17trampoline_kernelINS0_14default_configENS1_20scan_config_selectorIfEEZZNS1_9scan_implILNS1_25lookback_scan_determinismE0ELb1ELb1ES3_N6thrust23THRUST_200600_302600_NS6detail15normal_iteratorINS9_10device_ptrIKfEEEENSB_INSC_IfEEEEfNS9_4plusIvEEfEEDaPvRmT3_T4_T5_mT6_P12ihipStream_tbENKUlT_T0_E_clISt17integral_constantIbLb1EESW_IbLb0EEEEDaSS_ST_EUlSS_E_NS1_11comp_targetILNS1_3genE9ELNS1_11target_archE1100ELNS1_3gpuE3ELNS1_3repE0EEENS1_30default_config_static_selectorELNS0_4arch9wavefront6targetE1EEEvT1_
	.p2align	8
	.type	_ZN7rocprim17ROCPRIM_400000_NS6detail17trampoline_kernelINS0_14default_configENS1_20scan_config_selectorIfEEZZNS1_9scan_implILNS1_25lookback_scan_determinismE0ELb1ELb1ES3_N6thrust23THRUST_200600_302600_NS6detail15normal_iteratorINS9_10device_ptrIKfEEEENSB_INSC_IfEEEEfNS9_4plusIvEEfEEDaPvRmT3_T4_T5_mT6_P12ihipStream_tbENKUlT_T0_E_clISt17integral_constantIbLb1EESW_IbLb0EEEEDaSS_ST_EUlSS_E_NS1_11comp_targetILNS1_3genE9ELNS1_11target_archE1100ELNS1_3gpuE3ELNS1_3repE0EEENS1_30default_config_static_selectorELNS0_4arch9wavefront6targetE1EEEvT1_,@function
_ZN7rocprim17ROCPRIM_400000_NS6detail17trampoline_kernelINS0_14default_configENS1_20scan_config_selectorIfEEZZNS1_9scan_implILNS1_25lookback_scan_determinismE0ELb1ELb1ES3_N6thrust23THRUST_200600_302600_NS6detail15normal_iteratorINS9_10device_ptrIKfEEEENSB_INSC_IfEEEEfNS9_4plusIvEEfEEDaPvRmT3_T4_T5_mT6_P12ihipStream_tbENKUlT_T0_E_clISt17integral_constantIbLb1EESW_IbLb0EEEEDaSS_ST_EUlSS_E_NS1_11comp_targetILNS1_3genE9ELNS1_11target_archE1100ELNS1_3gpuE3ELNS1_3repE0EEENS1_30default_config_static_selectorELNS0_4arch9wavefront6targetE1EEEvT1_: ; @_ZN7rocprim17ROCPRIM_400000_NS6detail17trampoline_kernelINS0_14default_configENS1_20scan_config_selectorIfEEZZNS1_9scan_implILNS1_25lookback_scan_determinismE0ELb1ELb1ES3_N6thrust23THRUST_200600_302600_NS6detail15normal_iteratorINS9_10device_ptrIKfEEEENSB_INSC_IfEEEEfNS9_4plusIvEEfEEDaPvRmT3_T4_T5_mT6_P12ihipStream_tbENKUlT_T0_E_clISt17integral_constantIbLb1EESW_IbLb0EEEEDaSS_ST_EUlSS_E_NS1_11comp_targetILNS1_3genE9ELNS1_11target_archE1100ELNS1_3gpuE3ELNS1_3repE0EEENS1_30default_config_static_selectorELNS0_4arch9wavefront6targetE1EEEvT1_
; %bb.0:
	.section	.rodata,"a",@progbits
	.p2align	6, 0x0
	.amdhsa_kernel _ZN7rocprim17ROCPRIM_400000_NS6detail17trampoline_kernelINS0_14default_configENS1_20scan_config_selectorIfEEZZNS1_9scan_implILNS1_25lookback_scan_determinismE0ELb1ELb1ES3_N6thrust23THRUST_200600_302600_NS6detail15normal_iteratorINS9_10device_ptrIKfEEEENSB_INSC_IfEEEEfNS9_4plusIvEEfEEDaPvRmT3_T4_T5_mT6_P12ihipStream_tbENKUlT_T0_E_clISt17integral_constantIbLb1EESW_IbLb0EEEEDaSS_ST_EUlSS_E_NS1_11comp_targetILNS1_3genE9ELNS1_11target_archE1100ELNS1_3gpuE3ELNS1_3repE0EEENS1_30default_config_static_selectorELNS0_4arch9wavefront6targetE1EEEvT1_
		.amdhsa_group_segment_fixed_size 0
		.amdhsa_private_segment_fixed_size 0
		.amdhsa_kernarg_size 96
		.amdhsa_user_sgpr_count 2
		.amdhsa_user_sgpr_dispatch_ptr 0
		.amdhsa_user_sgpr_queue_ptr 0
		.amdhsa_user_sgpr_kernarg_segment_ptr 1
		.amdhsa_user_sgpr_dispatch_id 0
		.amdhsa_user_sgpr_kernarg_preload_length 0
		.amdhsa_user_sgpr_kernarg_preload_offset 0
		.amdhsa_user_sgpr_private_segment_size 0
		.amdhsa_uses_dynamic_stack 0
		.amdhsa_enable_private_segment 0
		.amdhsa_system_sgpr_workgroup_id_x 1
		.amdhsa_system_sgpr_workgroup_id_y 0
		.amdhsa_system_sgpr_workgroup_id_z 0
		.amdhsa_system_sgpr_workgroup_info 0
		.amdhsa_system_vgpr_workitem_id 0
		.amdhsa_next_free_vgpr 1
		.amdhsa_next_free_sgpr 0
		.amdhsa_accum_offset 4
		.amdhsa_reserve_vcc 0
		.amdhsa_float_round_mode_32 0
		.amdhsa_float_round_mode_16_64 0
		.amdhsa_float_denorm_mode_32 3
		.amdhsa_float_denorm_mode_16_64 3
		.amdhsa_dx10_clamp 1
		.amdhsa_ieee_mode 1
		.amdhsa_fp16_overflow 0
		.amdhsa_tg_split 0
		.amdhsa_exception_fp_ieee_invalid_op 0
		.amdhsa_exception_fp_denorm_src 0
		.amdhsa_exception_fp_ieee_div_zero 0
		.amdhsa_exception_fp_ieee_overflow 0
		.amdhsa_exception_fp_ieee_underflow 0
		.amdhsa_exception_fp_ieee_inexact 0
		.amdhsa_exception_int_div_zero 0
	.end_amdhsa_kernel
	.section	.text._ZN7rocprim17ROCPRIM_400000_NS6detail17trampoline_kernelINS0_14default_configENS1_20scan_config_selectorIfEEZZNS1_9scan_implILNS1_25lookback_scan_determinismE0ELb1ELb1ES3_N6thrust23THRUST_200600_302600_NS6detail15normal_iteratorINS9_10device_ptrIKfEEEENSB_INSC_IfEEEEfNS9_4plusIvEEfEEDaPvRmT3_T4_T5_mT6_P12ihipStream_tbENKUlT_T0_E_clISt17integral_constantIbLb1EESW_IbLb0EEEEDaSS_ST_EUlSS_E_NS1_11comp_targetILNS1_3genE9ELNS1_11target_archE1100ELNS1_3gpuE3ELNS1_3repE0EEENS1_30default_config_static_selectorELNS0_4arch9wavefront6targetE1EEEvT1_,"axG",@progbits,_ZN7rocprim17ROCPRIM_400000_NS6detail17trampoline_kernelINS0_14default_configENS1_20scan_config_selectorIfEEZZNS1_9scan_implILNS1_25lookback_scan_determinismE0ELb1ELb1ES3_N6thrust23THRUST_200600_302600_NS6detail15normal_iteratorINS9_10device_ptrIKfEEEENSB_INSC_IfEEEEfNS9_4plusIvEEfEEDaPvRmT3_T4_T5_mT6_P12ihipStream_tbENKUlT_T0_E_clISt17integral_constantIbLb1EESW_IbLb0EEEEDaSS_ST_EUlSS_E_NS1_11comp_targetILNS1_3genE9ELNS1_11target_archE1100ELNS1_3gpuE3ELNS1_3repE0EEENS1_30default_config_static_selectorELNS0_4arch9wavefront6targetE1EEEvT1_,comdat
.Lfunc_end55:
	.size	_ZN7rocprim17ROCPRIM_400000_NS6detail17trampoline_kernelINS0_14default_configENS1_20scan_config_selectorIfEEZZNS1_9scan_implILNS1_25lookback_scan_determinismE0ELb1ELb1ES3_N6thrust23THRUST_200600_302600_NS6detail15normal_iteratorINS9_10device_ptrIKfEEEENSB_INSC_IfEEEEfNS9_4plusIvEEfEEDaPvRmT3_T4_T5_mT6_P12ihipStream_tbENKUlT_T0_E_clISt17integral_constantIbLb1EESW_IbLb0EEEEDaSS_ST_EUlSS_E_NS1_11comp_targetILNS1_3genE9ELNS1_11target_archE1100ELNS1_3gpuE3ELNS1_3repE0EEENS1_30default_config_static_selectorELNS0_4arch9wavefront6targetE1EEEvT1_, .Lfunc_end55-_ZN7rocprim17ROCPRIM_400000_NS6detail17trampoline_kernelINS0_14default_configENS1_20scan_config_selectorIfEEZZNS1_9scan_implILNS1_25lookback_scan_determinismE0ELb1ELb1ES3_N6thrust23THRUST_200600_302600_NS6detail15normal_iteratorINS9_10device_ptrIKfEEEENSB_INSC_IfEEEEfNS9_4plusIvEEfEEDaPvRmT3_T4_T5_mT6_P12ihipStream_tbENKUlT_T0_E_clISt17integral_constantIbLb1EESW_IbLb0EEEEDaSS_ST_EUlSS_E_NS1_11comp_targetILNS1_3genE9ELNS1_11target_archE1100ELNS1_3gpuE3ELNS1_3repE0EEENS1_30default_config_static_selectorELNS0_4arch9wavefront6targetE1EEEvT1_
                                        ; -- End function
	.section	.AMDGPU.csdata,"",@progbits
; Kernel info:
; codeLenInByte = 0
; NumSgprs: 6
; NumVgprs: 0
; NumAgprs: 0
; TotalNumVgprs: 0
; ScratchSize: 0
; MemoryBound: 0
; FloatMode: 240
; IeeeMode: 1
; LDSByteSize: 0 bytes/workgroup (compile time only)
; SGPRBlocks: 0
; VGPRBlocks: 0
; NumSGPRsForWavesPerEU: 6
; NumVGPRsForWavesPerEU: 1
; AccumOffset: 4
; Occupancy: 8
; WaveLimiterHint : 0
; COMPUTE_PGM_RSRC2:SCRATCH_EN: 0
; COMPUTE_PGM_RSRC2:USER_SGPR: 2
; COMPUTE_PGM_RSRC2:TRAP_HANDLER: 0
; COMPUTE_PGM_RSRC2:TGID_X_EN: 1
; COMPUTE_PGM_RSRC2:TGID_Y_EN: 0
; COMPUTE_PGM_RSRC2:TGID_Z_EN: 0
; COMPUTE_PGM_RSRC2:TIDIG_COMP_CNT: 0
; COMPUTE_PGM_RSRC3_GFX90A:ACCUM_OFFSET: 0
; COMPUTE_PGM_RSRC3_GFX90A:TG_SPLIT: 0
	.section	.text._ZN7rocprim17ROCPRIM_400000_NS6detail17trampoline_kernelINS0_14default_configENS1_20scan_config_selectorIfEEZZNS1_9scan_implILNS1_25lookback_scan_determinismE0ELb1ELb1ES3_N6thrust23THRUST_200600_302600_NS6detail15normal_iteratorINS9_10device_ptrIKfEEEENSB_INSC_IfEEEEfNS9_4plusIvEEfEEDaPvRmT3_T4_T5_mT6_P12ihipStream_tbENKUlT_T0_E_clISt17integral_constantIbLb1EESW_IbLb0EEEEDaSS_ST_EUlSS_E_NS1_11comp_targetILNS1_3genE8ELNS1_11target_archE1030ELNS1_3gpuE2ELNS1_3repE0EEENS1_30default_config_static_selectorELNS0_4arch9wavefront6targetE1EEEvT1_,"axG",@progbits,_ZN7rocprim17ROCPRIM_400000_NS6detail17trampoline_kernelINS0_14default_configENS1_20scan_config_selectorIfEEZZNS1_9scan_implILNS1_25lookback_scan_determinismE0ELb1ELb1ES3_N6thrust23THRUST_200600_302600_NS6detail15normal_iteratorINS9_10device_ptrIKfEEEENSB_INSC_IfEEEEfNS9_4plusIvEEfEEDaPvRmT3_T4_T5_mT6_P12ihipStream_tbENKUlT_T0_E_clISt17integral_constantIbLb1EESW_IbLb0EEEEDaSS_ST_EUlSS_E_NS1_11comp_targetILNS1_3genE8ELNS1_11target_archE1030ELNS1_3gpuE2ELNS1_3repE0EEENS1_30default_config_static_selectorELNS0_4arch9wavefront6targetE1EEEvT1_,comdat
	.protected	_ZN7rocprim17ROCPRIM_400000_NS6detail17trampoline_kernelINS0_14default_configENS1_20scan_config_selectorIfEEZZNS1_9scan_implILNS1_25lookback_scan_determinismE0ELb1ELb1ES3_N6thrust23THRUST_200600_302600_NS6detail15normal_iteratorINS9_10device_ptrIKfEEEENSB_INSC_IfEEEEfNS9_4plusIvEEfEEDaPvRmT3_T4_T5_mT6_P12ihipStream_tbENKUlT_T0_E_clISt17integral_constantIbLb1EESW_IbLb0EEEEDaSS_ST_EUlSS_E_NS1_11comp_targetILNS1_3genE8ELNS1_11target_archE1030ELNS1_3gpuE2ELNS1_3repE0EEENS1_30default_config_static_selectorELNS0_4arch9wavefront6targetE1EEEvT1_ ; -- Begin function _ZN7rocprim17ROCPRIM_400000_NS6detail17trampoline_kernelINS0_14default_configENS1_20scan_config_selectorIfEEZZNS1_9scan_implILNS1_25lookback_scan_determinismE0ELb1ELb1ES3_N6thrust23THRUST_200600_302600_NS6detail15normal_iteratorINS9_10device_ptrIKfEEEENSB_INSC_IfEEEEfNS9_4plusIvEEfEEDaPvRmT3_T4_T5_mT6_P12ihipStream_tbENKUlT_T0_E_clISt17integral_constantIbLb1EESW_IbLb0EEEEDaSS_ST_EUlSS_E_NS1_11comp_targetILNS1_3genE8ELNS1_11target_archE1030ELNS1_3gpuE2ELNS1_3repE0EEENS1_30default_config_static_selectorELNS0_4arch9wavefront6targetE1EEEvT1_
	.globl	_ZN7rocprim17ROCPRIM_400000_NS6detail17trampoline_kernelINS0_14default_configENS1_20scan_config_selectorIfEEZZNS1_9scan_implILNS1_25lookback_scan_determinismE0ELb1ELb1ES3_N6thrust23THRUST_200600_302600_NS6detail15normal_iteratorINS9_10device_ptrIKfEEEENSB_INSC_IfEEEEfNS9_4plusIvEEfEEDaPvRmT3_T4_T5_mT6_P12ihipStream_tbENKUlT_T0_E_clISt17integral_constantIbLb1EESW_IbLb0EEEEDaSS_ST_EUlSS_E_NS1_11comp_targetILNS1_3genE8ELNS1_11target_archE1030ELNS1_3gpuE2ELNS1_3repE0EEENS1_30default_config_static_selectorELNS0_4arch9wavefront6targetE1EEEvT1_
	.p2align	8
	.type	_ZN7rocprim17ROCPRIM_400000_NS6detail17trampoline_kernelINS0_14default_configENS1_20scan_config_selectorIfEEZZNS1_9scan_implILNS1_25lookback_scan_determinismE0ELb1ELb1ES3_N6thrust23THRUST_200600_302600_NS6detail15normal_iteratorINS9_10device_ptrIKfEEEENSB_INSC_IfEEEEfNS9_4plusIvEEfEEDaPvRmT3_T4_T5_mT6_P12ihipStream_tbENKUlT_T0_E_clISt17integral_constantIbLb1EESW_IbLb0EEEEDaSS_ST_EUlSS_E_NS1_11comp_targetILNS1_3genE8ELNS1_11target_archE1030ELNS1_3gpuE2ELNS1_3repE0EEENS1_30default_config_static_selectorELNS0_4arch9wavefront6targetE1EEEvT1_,@function
_ZN7rocprim17ROCPRIM_400000_NS6detail17trampoline_kernelINS0_14default_configENS1_20scan_config_selectorIfEEZZNS1_9scan_implILNS1_25lookback_scan_determinismE0ELb1ELb1ES3_N6thrust23THRUST_200600_302600_NS6detail15normal_iteratorINS9_10device_ptrIKfEEEENSB_INSC_IfEEEEfNS9_4plusIvEEfEEDaPvRmT3_T4_T5_mT6_P12ihipStream_tbENKUlT_T0_E_clISt17integral_constantIbLb1EESW_IbLb0EEEEDaSS_ST_EUlSS_E_NS1_11comp_targetILNS1_3genE8ELNS1_11target_archE1030ELNS1_3gpuE2ELNS1_3repE0EEENS1_30default_config_static_selectorELNS0_4arch9wavefront6targetE1EEEvT1_: ; @_ZN7rocprim17ROCPRIM_400000_NS6detail17trampoline_kernelINS0_14default_configENS1_20scan_config_selectorIfEEZZNS1_9scan_implILNS1_25lookback_scan_determinismE0ELb1ELb1ES3_N6thrust23THRUST_200600_302600_NS6detail15normal_iteratorINS9_10device_ptrIKfEEEENSB_INSC_IfEEEEfNS9_4plusIvEEfEEDaPvRmT3_T4_T5_mT6_P12ihipStream_tbENKUlT_T0_E_clISt17integral_constantIbLb1EESW_IbLb0EEEEDaSS_ST_EUlSS_E_NS1_11comp_targetILNS1_3genE8ELNS1_11target_archE1030ELNS1_3gpuE2ELNS1_3repE0EEENS1_30default_config_static_selectorELNS0_4arch9wavefront6targetE1EEEvT1_
; %bb.0:
	.section	.rodata,"a",@progbits
	.p2align	6, 0x0
	.amdhsa_kernel _ZN7rocprim17ROCPRIM_400000_NS6detail17trampoline_kernelINS0_14default_configENS1_20scan_config_selectorIfEEZZNS1_9scan_implILNS1_25lookback_scan_determinismE0ELb1ELb1ES3_N6thrust23THRUST_200600_302600_NS6detail15normal_iteratorINS9_10device_ptrIKfEEEENSB_INSC_IfEEEEfNS9_4plusIvEEfEEDaPvRmT3_T4_T5_mT6_P12ihipStream_tbENKUlT_T0_E_clISt17integral_constantIbLb1EESW_IbLb0EEEEDaSS_ST_EUlSS_E_NS1_11comp_targetILNS1_3genE8ELNS1_11target_archE1030ELNS1_3gpuE2ELNS1_3repE0EEENS1_30default_config_static_selectorELNS0_4arch9wavefront6targetE1EEEvT1_
		.amdhsa_group_segment_fixed_size 0
		.amdhsa_private_segment_fixed_size 0
		.amdhsa_kernarg_size 96
		.amdhsa_user_sgpr_count 2
		.amdhsa_user_sgpr_dispatch_ptr 0
		.amdhsa_user_sgpr_queue_ptr 0
		.amdhsa_user_sgpr_kernarg_segment_ptr 1
		.amdhsa_user_sgpr_dispatch_id 0
		.amdhsa_user_sgpr_kernarg_preload_length 0
		.amdhsa_user_sgpr_kernarg_preload_offset 0
		.amdhsa_user_sgpr_private_segment_size 0
		.amdhsa_uses_dynamic_stack 0
		.amdhsa_enable_private_segment 0
		.amdhsa_system_sgpr_workgroup_id_x 1
		.amdhsa_system_sgpr_workgroup_id_y 0
		.amdhsa_system_sgpr_workgroup_id_z 0
		.amdhsa_system_sgpr_workgroup_info 0
		.amdhsa_system_vgpr_workitem_id 0
		.amdhsa_next_free_vgpr 1
		.amdhsa_next_free_sgpr 0
		.amdhsa_accum_offset 4
		.amdhsa_reserve_vcc 0
		.amdhsa_float_round_mode_32 0
		.amdhsa_float_round_mode_16_64 0
		.amdhsa_float_denorm_mode_32 3
		.amdhsa_float_denorm_mode_16_64 3
		.amdhsa_dx10_clamp 1
		.amdhsa_ieee_mode 1
		.amdhsa_fp16_overflow 0
		.amdhsa_tg_split 0
		.amdhsa_exception_fp_ieee_invalid_op 0
		.amdhsa_exception_fp_denorm_src 0
		.amdhsa_exception_fp_ieee_div_zero 0
		.amdhsa_exception_fp_ieee_overflow 0
		.amdhsa_exception_fp_ieee_underflow 0
		.amdhsa_exception_fp_ieee_inexact 0
		.amdhsa_exception_int_div_zero 0
	.end_amdhsa_kernel
	.section	.text._ZN7rocprim17ROCPRIM_400000_NS6detail17trampoline_kernelINS0_14default_configENS1_20scan_config_selectorIfEEZZNS1_9scan_implILNS1_25lookback_scan_determinismE0ELb1ELb1ES3_N6thrust23THRUST_200600_302600_NS6detail15normal_iteratorINS9_10device_ptrIKfEEEENSB_INSC_IfEEEEfNS9_4plusIvEEfEEDaPvRmT3_T4_T5_mT6_P12ihipStream_tbENKUlT_T0_E_clISt17integral_constantIbLb1EESW_IbLb0EEEEDaSS_ST_EUlSS_E_NS1_11comp_targetILNS1_3genE8ELNS1_11target_archE1030ELNS1_3gpuE2ELNS1_3repE0EEENS1_30default_config_static_selectorELNS0_4arch9wavefront6targetE1EEEvT1_,"axG",@progbits,_ZN7rocprim17ROCPRIM_400000_NS6detail17trampoline_kernelINS0_14default_configENS1_20scan_config_selectorIfEEZZNS1_9scan_implILNS1_25lookback_scan_determinismE0ELb1ELb1ES3_N6thrust23THRUST_200600_302600_NS6detail15normal_iteratorINS9_10device_ptrIKfEEEENSB_INSC_IfEEEEfNS9_4plusIvEEfEEDaPvRmT3_T4_T5_mT6_P12ihipStream_tbENKUlT_T0_E_clISt17integral_constantIbLb1EESW_IbLb0EEEEDaSS_ST_EUlSS_E_NS1_11comp_targetILNS1_3genE8ELNS1_11target_archE1030ELNS1_3gpuE2ELNS1_3repE0EEENS1_30default_config_static_selectorELNS0_4arch9wavefront6targetE1EEEvT1_,comdat
.Lfunc_end56:
	.size	_ZN7rocprim17ROCPRIM_400000_NS6detail17trampoline_kernelINS0_14default_configENS1_20scan_config_selectorIfEEZZNS1_9scan_implILNS1_25lookback_scan_determinismE0ELb1ELb1ES3_N6thrust23THRUST_200600_302600_NS6detail15normal_iteratorINS9_10device_ptrIKfEEEENSB_INSC_IfEEEEfNS9_4plusIvEEfEEDaPvRmT3_T4_T5_mT6_P12ihipStream_tbENKUlT_T0_E_clISt17integral_constantIbLb1EESW_IbLb0EEEEDaSS_ST_EUlSS_E_NS1_11comp_targetILNS1_3genE8ELNS1_11target_archE1030ELNS1_3gpuE2ELNS1_3repE0EEENS1_30default_config_static_selectorELNS0_4arch9wavefront6targetE1EEEvT1_, .Lfunc_end56-_ZN7rocprim17ROCPRIM_400000_NS6detail17trampoline_kernelINS0_14default_configENS1_20scan_config_selectorIfEEZZNS1_9scan_implILNS1_25lookback_scan_determinismE0ELb1ELb1ES3_N6thrust23THRUST_200600_302600_NS6detail15normal_iteratorINS9_10device_ptrIKfEEEENSB_INSC_IfEEEEfNS9_4plusIvEEfEEDaPvRmT3_T4_T5_mT6_P12ihipStream_tbENKUlT_T0_E_clISt17integral_constantIbLb1EESW_IbLb0EEEEDaSS_ST_EUlSS_E_NS1_11comp_targetILNS1_3genE8ELNS1_11target_archE1030ELNS1_3gpuE2ELNS1_3repE0EEENS1_30default_config_static_selectorELNS0_4arch9wavefront6targetE1EEEvT1_
                                        ; -- End function
	.section	.AMDGPU.csdata,"",@progbits
; Kernel info:
; codeLenInByte = 0
; NumSgprs: 6
; NumVgprs: 0
; NumAgprs: 0
; TotalNumVgprs: 0
; ScratchSize: 0
; MemoryBound: 0
; FloatMode: 240
; IeeeMode: 1
; LDSByteSize: 0 bytes/workgroup (compile time only)
; SGPRBlocks: 0
; VGPRBlocks: 0
; NumSGPRsForWavesPerEU: 6
; NumVGPRsForWavesPerEU: 1
; AccumOffset: 4
; Occupancy: 8
; WaveLimiterHint : 0
; COMPUTE_PGM_RSRC2:SCRATCH_EN: 0
; COMPUTE_PGM_RSRC2:USER_SGPR: 2
; COMPUTE_PGM_RSRC2:TRAP_HANDLER: 0
; COMPUTE_PGM_RSRC2:TGID_X_EN: 1
; COMPUTE_PGM_RSRC2:TGID_Y_EN: 0
; COMPUTE_PGM_RSRC2:TGID_Z_EN: 0
; COMPUTE_PGM_RSRC2:TIDIG_COMP_CNT: 0
; COMPUTE_PGM_RSRC3_GFX90A:ACCUM_OFFSET: 0
; COMPUTE_PGM_RSRC3_GFX90A:TG_SPLIT: 0
	.section	.text._ZN7rocprim17ROCPRIM_400000_NS6detail17trampoline_kernelINS0_14default_configENS1_20scan_config_selectorIfEEZZNS1_9scan_implILNS1_25lookback_scan_determinismE0ELb1ELb1ES3_N6thrust23THRUST_200600_302600_NS6detail15normal_iteratorINS9_10device_ptrIKfEEEENSB_INSC_IfEEEEfNS9_4plusIvEEfEEDaPvRmT3_T4_T5_mT6_P12ihipStream_tbENKUlT_T0_E_clISt17integral_constantIbLb1EESW_IbLb0EEEEDaSS_ST_EUlSS_E0_NS1_11comp_targetILNS1_3genE0ELNS1_11target_archE4294967295ELNS1_3gpuE0ELNS1_3repE0EEENS1_30default_config_static_selectorELNS0_4arch9wavefront6targetE1EEEvT1_,"axG",@progbits,_ZN7rocprim17ROCPRIM_400000_NS6detail17trampoline_kernelINS0_14default_configENS1_20scan_config_selectorIfEEZZNS1_9scan_implILNS1_25lookback_scan_determinismE0ELb1ELb1ES3_N6thrust23THRUST_200600_302600_NS6detail15normal_iteratorINS9_10device_ptrIKfEEEENSB_INSC_IfEEEEfNS9_4plusIvEEfEEDaPvRmT3_T4_T5_mT6_P12ihipStream_tbENKUlT_T0_E_clISt17integral_constantIbLb1EESW_IbLb0EEEEDaSS_ST_EUlSS_E0_NS1_11comp_targetILNS1_3genE0ELNS1_11target_archE4294967295ELNS1_3gpuE0ELNS1_3repE0EEENS1_30default_config_static_selectorELNS0_4arch9wavefront6targetE1EEEvT1_,comdat
	.protected	_ZN7rocprim17ROCPRIM_400000_NS6detail17trampoline_kernelINS0_14default_configENS1_20scan_config_selectorIfEEZZNS1_9scan_implILNS1_25lookback_scan_determinismE0ELb1ELb1ES3_N6thrust23THRUST_200600_302600_NS6detail15normal_iteratorINS9_10device_ptrIKfEEEENSB_INSC_IfEEEEfNS9_4plusIvEEfEEDaPvRmT3_T4_T5_mT6_P12ihipStream_tbENKUlT_T0_E_clISt17integral_constantIbLb1EESW_IbLb0EEEEDaSS_ST_EUlSS_E0_NS1_11comp_targetILNS1_3genE0ELNS1_11target_archE4294967295ELNS1_3gpuE0ELNS1_3repE0EEENS1_30default_config_static_selectorELNS0_4arch9wavefront6targetE1EEEvT1_ ; -- Begin function _ZN7rocprim17ROCPRIM_400000_NS6detail17trampoline_kernelINS0_14default_configENS1_20scan_config_selectorIfEEZZNS1_9scan_implILNS1_25lookback_scan_determinismE0ELb1ELb1ES3_N6thrust23THRUST_200600_302600_NS6detail15normal_iteratorINS9_10device_ptrIKfEEEENSB_INSC_IfEEEEfNS9_4plusIvEEfEEDaPvRmT3_T4_T5_mT6_P12ihipStream_tbENKUlT_T0_E_clISt17integral_constantIbLb1EESW_IbLb0EEEEDaSS_ST_EUlSS_E0_NS1_11comp_targetILNS1_3genE0ELNS1_11target_archE4294967295ELNS1_3gpuE0ELNS1_3repE0EEENS1_30default_config_static_selectorELNS0_4arch9wavefront6targetE1EEEvT1_
	.globl	_ZN7rocprim17ROCPRIM_400000_NS6detail17trampoline_kernelINS0_14default_configENS1_20scan_config_selectorIfEEZZNS1_9scan_implILNS1_25lookback_scan_determinismE0ELb1ELb1ES3_N6thrust23THRUST_200600_302600_NS6detail15normal_iteratorINS9_10device_ptrIKfEEEENSB_INSC_IfEEEEfNS9_4plusIvEEfEEDaPvRmT3_T4_T5_mT6_P12ihipStream_tbENKUlT_T0_E_clISt17integral_constantIbLb1EESW_IbLb0EEEEDaSS_ST_EUlSS_E0_NS1_11comp_targetILNS1_3genE0ELNS1_11target_archE4294967295ELNS1_3gpuE0ELNS1_3repE0EEENS1_30default_config_static_selectorELNS0_4arch9wavefront6targetE1EEEvT1_
	.p2align	8
	.type	_ZN7rocprim17ROCPRIM_400000_NS6detail17trampoline_kernelINS0_14default_configENS1_20scan_config_selectorIfEEZZNS1_9scan_implILNS1_25lookback_scan_determinismE0ELb1ELb1ES3_N6thrust23THRUST_200600_302600_NS6detail15normal_iteratorINS9_10device_ptrIKfEEEENSB_INSC_IfEEEEfNS9_4plusIvEEfEEDaPvRmT3_T4_T5_mT6_P12ihipStream_tbENKUlT_T0_E_clISt17integral_constantIbLb1EESW_IbLb0EEEEDaSS_ST_EUlSS_E0_NS1_11comp_targetILNS1_3genE0ELNS1_11target_archE4294967295ELNS1_3gpuE0ELNS1_3repE0EEENS1_30default_config_static_selectorELNS0_4arch9wavefront6targetE1EEEvT1_,@function
_ZN7rocprim17ROCPRIM_400000_NS6detail17trampoline_kernelINS0_14default_configENS1_20scan_config_selectorIfEEZZNS1_9scan_implILNS1_25lookback_scan_determinismE0ELb1ELb1ES3_N6thrust23THRUST_200600_302600_NS6detail15normal_iteratorINS9_10device_ptrIKfEEEENSB_INSC_IfEEEEfNS9_4plusIvEEfEEDaPvRmT3_T4_T5_mT6_P12ihipStream_tbENKUlT_T0_E_clISt17integral_constantIbLb1EESW_IbLb0EEEEDaSS_ST_EUlSS_E0_NS1_11comp_targetILNS1_3genE0ELNS1_11target_archE4294967295ELNS1_3gpuE0ELNS1_3repE0EEENS1_30default_config_static_selectorELNS0_4arch9wavefront6targetE1EEEvT1_: ; @_ZN7rocprim17ROCPRIM_400000_NS6detail17trampoline_kernelINS0_14default_configENS1_20scan_config_selectorIfEEZZNS1_9scan_implILNS1_25lookback_scan_determinismE0ELb1ELb1ES3_N6thrust23THRUST_200600_302600_NS6detail15normal_iteratorINS9_10device_ptrIKfEEEENSB_INSC_IfEEEEfNS9_4plusIvEEfEEDaPvRmT3_T4_T5_mT6_P12ihipStream_tbENKUlT_T0_E_clISt17integral_constantIbLb1EESW_IbLb0EEEEDaSS_ST_EUlSS_E0_NS1_11comp_targetILNS1_3genE0ELNS1_11target_archE4294967295ELNS1_3gpuE0ELNS1_3repE0EEENS1_30default_config_static_selectorELNS0_4arch9wavefront6targetE1EEEvT1_
; %bb.0:
	.section	.rodata,"a",@progbits
	.p2align	6, 0x0
	.amdhsa_kernel _ZN7rocprim17ROCPRIM_400000_NS6detail17trampoline_kernelINS0_14default_configENS1_20scan_config_selectorIfEEZZNS1_9scan_implILNS1_25lookback_scan_determinismE0ELb1ELb1ES3_N6thrust23THRUST_200600_302600_NS6detail15normal_iteratorINS9_10device_ptrIKfEEEENSB_INSC_IfEEEEfNS9_4plusIvEEfEEDaPvRmT3_T4_T5_mT6_P12ihipStream_tbENKUlT_T0_E_clISt17integral_constantIbLb1EESW_IbLb0EEEEDaSS_ST_EUlSS_E0_NS1_11comp_targetILNS1_3genE0ELNS1_11target_archE4294967295ELNS1_3gpuE0ELNS1_3repE0EEENS1_30default_config_static_selectorELNS0_4arch9wavefront6targetE1EEEvT1_
		.amdhsa_group_segment_fixed_size 0
		.amdhsa_private_segment_fixed_size 0
		.amdhsa_kernarg_size 32
		.amdhsa_user_sgpr_count 2
		.amdhsa_user_sgpr_dispatch_ptr 0
		.amdhsa_user_sgpr_queue_ptr 0
		.amdhsa_user_sgpr_kernarg_segment_ptr 1
		.amdhsa_user_sgpr_dispatch_id 0
		.amdhsa_user_sgpr_kernarg_preload_length 0
		.amdhsa_user_sgpr_kernarg_preload_offset 0
		.amdhsa_user_sgpr_private_segment_size 0
		.amdhsa_uses_dynamic_stack 0
		.amdhsa_enable_private_segment 0
		.amdhsa_system_sgpr_workgroup_id_x 1
		.amdhsa_system_sgpr_workgroup_id_y 0
		.amdhsa_system_sgpr_workgroup_id_z 0
		.amdhsa_system_sgpr_workgroup_info 0
		.amdhsa_system_vgpr_workitem_id 0
		.amdhsa_next_free_vgpr 1
		.amdhsa_next_free_sgpr 0
		.amdhsa_accum_offset 4
		.amdhsa_reserve_vcc 0
		.amdhsa_float_round_mode_32 0
		.amdhsa_float_round_mode_16_64 0
		.amdhsa_float_denorm_mode_32 3
		.amdhsa_float_denorm_mode_16_64 3
		.amdhsa_dx10_clamp 1
		.amdhsa_ieee_mode 1
		.amdhsa_fp16_overflow 0
		.amdhsa_tg_split 0
		.amdhsa_exception_fp_ieee_invalid_op 0
		.amdhsa_exception_fp_denorm_src 0
		.amdhsa_exception_fp_ieee_div_zero 0
		.amdhsa_exception_fp_ieee_overflow 0
		.amdhsa_exception_fp_ieee_underflow 0
		.amdhsa_exception_fp_ieee_inexact 0
		.amdhsa_exception_int_div_zero 0
	.end_amdhsa_kernel
	.section	.text._ZN7rocprim17ROCPRIM_400000_NS6detail17trampoline_kernelINS0_14default_configENS1_20scan_config_selectorIfEEZZNS1_9scan_implILNS1_25lookback_scan_determinismE0ELb1ELb1ES3_N6thrust23THRUST_200600_302600_NS6detail15normal_iteratorINS9_10device_ptrIKfEEEENSB_INSC_IfEEEEfNS9_4plusIvEEfEEDaPvRmT3_T4_T5_mT6_P12ihipStream_tbENKUlT_T0_E_clISt17integral_constantIbLb1EESW_IbLb0EEEEDaSS_ST_EUlSS_E0_NS1_11comp_targetILNS1_3genE0ELNS1_11target_archE4294967295ELNS1_3gpuE0ELNS1_3repE0EEENS1_30default_config_static_selectorELNS0_4arch9wavefront6targetE1EEEvT1_,"axG",@progbits,_ZN7rocprim17ROCPRIM_400000_NS6detail17trampoline_kernelINS0_14default_configENS1_20scan_config_selectorIfEEZZNS1_9scan_implILNS1_25lookback_scan_determinismE0ELb1ELb1ES3_N6thrust23THRUST_200600_302600_NS6detail15normal_iteratorINS9_10device_ptrIKfEEEENSB_INSC_IfEEEEfNS9_4plusIvEEfEEDaPvRmT3_T4_T5_mT6_P12ihipStream_tbENKUlT_T0_E_clISt17integral_constantIbLb1EESW_IbLb0EEEEDaSS_ST_EUlSS_E0_NS1_11comp_targetILNS1_3genE0ELNS1_11target_archE4294967295ELNS1_3gpuE0ELNS1_3repE0EEENS1_30default_config_static_selectorELNS0_4arch9wavefront6targetE1EEEvT1_,comdat
.Lfunc_end57:
	.size	_ZN7rocprim17ROCPRIM_400000_NS6detail17trampoline_kernelINS0_14default_configENS1_20scan_config_selectorIfEEZZNS1_9scan_implILNS1_25lookback_scan_determinismE0ELb1ELb1ES3_N6thrust23THRUST_200600_302600_NS6detail15normal_iteratorINS9_10device_ptrIKfEEEENSB_INSC_IfEEEEfNS9_4plusIvEEfEEDaPvRmT3_T4_T5_mT6_P12ihipStream_tbENKUlT_T0_E_clISt17integral_constantIbLb1EESW_IbLb0EEEEDaSS_ST_EUlSS_E0_NS1_11comp_targetILNS1_3genE0ELNS1_11target_archE4294967295ELNS1_3gpuE0ELNS1_3repE0EEENS1_30default_config_static_selectorELNS0_4arch9wavefront6targetE1EEEvT1_, .Lfunc_end57-_ZN7rocprim17ROCPRIM_400000_NS6detail17trampoline_kernelINS0_14default_configENS1_20scan_config_selectorIfEEZZNS1_9scan_implILNS1_25lookback_scan_determinismE0ELb1ELb1ES3_N6thrust23THRUST_200600_302600_NS6detail15normal_iteratorINS9_10device_ptrIKfEEEENSB_INSC_IfEEEEfNS9_4plusIvEEfEEDaPvRmT3_T4_T5_mT6_P12ihipStream_tbENKUlT_T0_E_clISt17integral_constantIbLb1EESW_IbLb0EEEEDaSS_ST_EUlSS_E0_NS1_11comp_targetILNS1_3genE0ELNS1_11target_archE4294967295ELNS1_3gpuE0ELNS1_3repE0EEENS1_30default_config_static_selectorELNS0_4arch9wavefront6targetE1EEEvT1_
                                        ; -- End function
	.section	.AMDGPU.csdata,"",@progbits
; Kernel info:
; codeLenInByte = 0
; NumSgprs: 6
; NumVgprs: 0
; NumAgprs: 0
; TotalNumVgprs: 0
; ScratchSize: 0
; MemoryBound: 0
; FloatMode: 240
; IeeeMode: 1
; LDSByteSize: 0 bytes/workgroup (compile time only)
; SGPRBlocks: 0
; VGPRBlocks: 0
; NumSGPRsForWavesPerEU: 6
; NumVGPRsForWavesPerEU: 1
; AccumOffset: 4
; Occupancy: 8
; WaveLimiterHint : 0
; COMPUTE_PGM_RSRC2:SCRATCH_EN: 0
; COMPUTE_PGM_RSRC2:USER_SGPR: 2
; COMPUTE_PGM_RSRC2:TRAP_HANDLER: 0
; COMPUTE_PGM_RSRC2:TGID_X_EN: 1
; COMPUTE_PGM_RSRC2:TGID_Y_EN: 0
; COMPUTE_PGM_RSRC2:TGID_Z_EN: 0
; COMPUTE_PGM_RSRC2:TIDIG_COMP_CNT: 0
; COMPUTE_PGM_RSRC3_GFX90A:ACCUM_OFFSET: 0
; COMPUTE_PGM_RSRC3_GFX90A:TG_SPLIT: 0
	.section	.text._ZN7rocprim17ROCPRIM_400000_NS6detail17trampoline_kernelINS0_14default_configENS1_20scan_config_selectorIfEEZZNS1_9scan_implILNS1_25lookback_scan_determinismE0ELb1ELb1ES3_N6thrust23THRUST_200600_302600_NS6detail15normal_iteratorINS9_10device_ptrIKfEEEENSB_INSC_IfEEEEfNS9_4plusIvEEfEEDaPvRmT3_T4_T5_mT6_P12ihipStream_tbENKUlT_T0_E_clISt17integral_constantIbLb1EESW_IbLb0EEEEDaSS_ST_EUlSS_E0_NS1_11comp_targetILNS1_3genE5ELNS1_11target_archE942ELNS1_3gpuE9ELNS1_3repE0EEENS1_30default_config_static_selectorELNS0_4arch9wavefront6targetE1EEEvT1_,"axG",@progbits,_ZN7rocprim17ROCPRIM_400000_NS6detail17trampoline_kernelINS0_14default_configENS1_20scan_config_selectorIfEEZZNS1_9scan_implILNS1_25lookback_scan_determinismE0ELb1ELb1ES3_N6thrust23THRUST_200600_302600_NS6detail15normal_iteratorINS9_10device_ptrIKfEEEENSB_INSC_IfEEEEfNS9_4plusIvEEfEEDaPvRmT3_T4_T5_mT6_P12ihipStream_tbENKUlT_T0_E_clISt17integral_constantIbLb1EESW_IbLb0EEEEDaSS_ST_EUlSS_E0_NS1_11comp_targetILNS1_3genE5ELNS1_11target_archE942ELNS1_3gpuE9ELNS1_3repE0EEENS1_30default_config_static_selectorELNS0_4arch9wavefront6targetE1EEEvT1_,comdat
	.protected	_ZN7rocprim17ROCPRIM_400000_NS6detail17trampoline_kernelINS0_14default_configENS1_20scan_config_selectorIfEEZZNS1_9scan_implILNS1_25lookback_scan_determinismE0ELb1ELb1ES3_N6thrust23THRUST_200600_302600_NS6detail15normal_iteratorINS9_10device_ptrIKfEEEENSB_INSC_IfEEEEfNS9_4plusIvEEfEEDaPvRmT3_T4_T5_mT6_P12ihipStream_tbENKUlT_T0_E_clISt17integral_constantIbLb1EESW_IbLb0EEEEDaSS_ST_EUlSS_E0_NS1_11comp_targetILNS1_3genE5ELNS1_11target_archE942ELNS1_3gpuE9ELNS1_3repE0EEENS1_30default_config_static_selectorELNS0_4arch9wavefront6targetE1EEEvT1_ ; -- Begin function _ZN7rocprim17ROCPRIM_400000_NS6detail17trampoline_kernelINS0_14default_configENS1_20scan_config_selectorIfEEZZNS1_9scan_implILNS1_25lookback_scan_determinismE0ELb1ELb1ES3_N6thrust23THRUST_200600_302600_NS6detail15normal_iteratorINS9_10device_ptrIKfEEEENSB_INSC_IfEEEEfNS9_4plusIvEEfEEDaPvRmT3_T4_T5_mT6_P12ihipStream_tbENKUlT_T0_E_clISt17integral_constantIbLb1EESW_IbLb0EEEEDaSS_ST_EUlSS_E0_NS1_11comp_targetILNS1_3genE5ELNS1_11target_archE942ELNS1_3gpuE9ELNS1_3repE0EEENS1_30default_config_static_selectorELNS0_4arch9wavefront6targetE1EEEvT1_
	.globl	_ZN7rocprim17ROCPRIM_400000_NS6detail17trampoline_kernelINS0_14default_configENS1_20scan_config_selectorIfEEZZNS1_9scan_implILNS1_25lookback_scan_determinismE0ELb1ELb1ES3_N6thrust23THRUST_200600_302600_NS6detail15normal_iteratorINS9_10device_ptrIKfEEEENSB_INSC_IfEEEEfNS9_4plusIvEEfEEDaPvRmT3_T4_T5_mT6_P12ihipStream_tbENKUlT_T0_E_clISt17integral_constantIbLb1EESW_IbLb0EEEEDaSS_ST_EUlSS_E0_NS1_11comp_targetILNS1_3genE5ELNS1_11target_archE942ELNS1_3gpuE9ELNS1_3repE0EEENS1_30default_config_static_selectorELNS0_4arch9wavefront6targetE1EEEvT1_
	.p2align	8
	.type	_ZN7rocprim17ROCPRIM_400000_NS6detail17trampoline_kernelINS0_14default_configENS1_20scan_config_selectorIfEEZZNS1_9scan_implILNS1_25lookback_scan_determinismE0ELb1ELb1ES3_N6thrust23THRUST_200600_302600_NS6detail15normal_iteratorINS9_10device_ptrIKfEEEENSB_INSC_IfEEEEfNS9_4plusIvEEfEEDaPvRmT3_T4_T5_mT6_P12ihipStream_tbENKUlT_T0_E_clISt17integral_constantIbLb1EESW_IbLb0EEEEDaSS_ST_EUlSS_E0_NS1_11comp_targetILNS1_3genE5ELNS1_11target_archE942ELNS1_3gpuE9ELNS1_3repE0EEENS1_30default_config_static_selectorELNS0_4arch9wavefront6targetE1EEEvT1_,@function
_ZN7rocprim17ROCPRIM_400000_NS6detail17trampoline_kernelINS0_14default_configENS1_20scan_config_selectorIfEEZZNS1_9scan_implILNS1_25lookback_scan_determinismE0ELb1ELb1ES3_N6thrust23THRUST_200600_302600_NS6detail15normal_iteratorINS9_10device_ptrIKfEEEENSB_INSC_IfEEEEfNS9_4plusIvEEfEEDaPvRmT3_T4_T5_mT6_P12ihipStream_tbENKUlT_T0_E_clISt17integral_constantIbLb1EESW_IbLb0EEEEDaSS_ST_EUlSS_E0_NS1_11comp_targetILNS1_3genE5ELNS1_11target_archE942ELNS1_3gpuE9ELNS1_3repE0EEENS1_30default_config_static_selectorELNS0_4arch9wavefront6targetE1EEEvT1_: ; @_ZN7rocprim17ROCPRIM_400000_NS6detail17trampoline_kernelINS0_14default_configENS1_20scan_config_selectorIfEEZZNS1_9scan_implILNS1_25lookback_scan_determinismE0ELb1ELb1ES3_N6thrust23THRUST_200600_302600_NS6detail15normal_iteratorINS9_10device_ptrIKfEEEENSB_INSC_IfEEEEfNS9_4plusIvEEfEEDaPvRmT3_T4_T5_mT6_P12ihipStream_tbENKUlT_T0_E_clISt17integral_constantIbLb1EESW_IbLb0EEEEDaSS_ST_EUlSS_E0_NS1_11comp_targetILNS1_3genE5ELNS1_11target_archE942ELNS1_3gpuE9ELNS1_3repE0EEENS1_30default_config_static_selectorELNS0_4arch9wavefront6targetE1EEEvT1_
; %bb.0:
	s_load_dwordx4 s[52:55], s[0:1], 0x0
	v_lshlrev_b32_e32 v30, 2, v0
	s_waitcnt lgkmcnt(0)
	s_load_dword s33, s[52:53], 0x0
	v_cmp_gt_u32_e32 vcc, s54, v0
	s_waitcnt lgkmcnt(0)
	v_mov_b32_e32 v1, s33
	s_and_saveexec_b64 s[2:3], vcc
	s_cbranch_execz .LBB58_2
; %bb.1:
	global_load_dword v1, v30, s[52:53]
.LBB58_2:
	s_or_b64 exec, exec, s[2:3]
	v_or_b32_e32 v2, 0x100, v0
	v_cmp_gt_u32_e64 s[48:49], s54, v2
	v_mov_b32_e32 v2, s33
	s_and_saveexec_b64 s[2:3], s[48:49]
	s_cbranch_execz .LBB58_4
; %bb.3:
	global_load_dword v2, v30, s[52:53] offset:1024
.LBB58_4:
	s_or_b64 exec, exec, s[2:3]
	v_or_b32_e32 v3, 0x200, v0
	v_cmp_gt_u32_e64 s[2:3], s54, v3
	v_mov_b32_e32 v3, s33
	s_and_saveexec_b64 s[4:5], s[2:3]
	s_cbranch_execz .LBB58_6
; %bb.5:
	global_load_dword v3, v30, s[52:53] offset:2048
.LBB58_6:
	;; [unrolled: 9-line block ×3, first 2 shown]
	s_or_b64 exec, exec, s[6:7]
	v_or_b32_e32 v6, 0x400, v0
	v_cmp_gt_u32_e64 s[6:7], s54, v6
	v_mov_b32_e32 v5, s33
	s_and_saveexec_b64 s[8:9], s[6:7]
	s_cbranch_execz .LBB58_10
; %bb.9:
	v_lshlrev_b32_e32 v5, 2, v6
	global_load_dword v5, v5, s[52:53]
.LBB58_10:
	s_or_b64 exec, exec, s[8:9]
	v_or_b32_e32 v7, 0x500, v0
	v_cmp_gt_u32_e64 s[8:9], s54, v7
	v_mov_b32_e32 v6, s33
	s_and_saveexec_b64 s[10:11], s[8:9]
	s_cbranch_execz .LBB58_12
; %bb.11:
	v_lshlrev_b32_e32 v6, 2, v7
	global_load_dword v6, v6, s[52:53]
.LBB58_12:
	;; [unrolled: 10-line block ×19, first 2 shown]
	s_or_b64 exec, exec, s[46:47]
	s_load_dword s58, s[0:1], 0x10
	v_or_b32_e32 v25, 0x1700, v0
	v_cmp_gt_u32_e64 s[46:47], s54, v25
	v_mov_b32_e32 v24, s33
	s_and_saveexec_b64 s[50:51], s[46:47]
	s_cbranch_execz .LBB58_48
; %bb.47:
	v_lshlrev_b32_e32 v24, 2, v25
	global_load_dword v24, v24, s[52:53]
.LBB58_48:
	s_or_b64 exec, exec, s[50:51]
	s_movk_i32 s33, 0x5c
	s_waitcnt vmcnt(0)
	ds_write2st64_b32 v30, v1, v2 offset1:4
	ds_write2st64_b32 v30, v3, v4 offset0:8 offset1:12
	ds_write2st64_b32 v30, v5, v6 offset0:16 offset1:20
	;; [unrolled: 1-line block ×11, first 2 shown]
	v_mad_u32_u24 v1, v0, s33, v30
	s_waitcnt lgkmcnt(0)
	s_barrier
	ds_read_b128 v[22:25], v1
	ds_read_b128 v[18:21], v1 offset:16
	ds_read_b128 v[14:17], v1 offset:32
	;; [unrolled: 1-line block ×5, first 2 shown]
	s_waitcnt lgkmcnt(5)
	v_add_f32_e32 v26, v22, v23
	v_add_f32_e32 v26, v26, v24
	v_add_f32_e32 v26, v26, v25
	s_waitcnt lgkmcnt(4)
	v_add_f32_e32 v26, v26, v18
	v_add_f32_e32 v26, v26, v19
	v_add_f32_e32 v26, v26, v20
	v_add_f32_e32 v26, v26, v21
	s_waitcnt lgkmcnt(3)
	v_add_f32_e32 v26, v26, v14
	;; [unrolled: 5-line block ×5, first 2 shown]
	v_add_f32_e32 v26, v26, v3
	v_add_f32_e32 v26, v26, v4
	;; [unrolled: 1-line block ×3, first 2 shown]
	v_lshrrev_b32_e32 v26, 3, v0
	v_and_b32_e32 v27, 28, v26
	v_add_u32_e32 v27, v30, v27
	v_cmp_gt_u32_e64 s[50:51], 64, v0
	s_barrier
	ds_write_b32 v27, v5
	s_waitcnt lgkmcnt(0)
	s_barrier
	s_and_saveexec_b64 s[56:57], s[50:51]
	s_cbranch_execz .LBB58_50
; %bb.49:
	v_add_lshl_u32 v31, v26, v30, 2
	ds_read2_b32 v[26:27], v31 offset1:1
	ds_read2_b32 v[28:29], v31 offset0:2 offset1:3
	v_mbcnt_lo_u32_b32 v32, -1, 0
	v_mbcnt_hi_u32_b32 v32, -1, v32
	v_and_b32_e32 v33, 15, v32
	s_waitcnt lgkmcnt(1)
	v_add_f32_e32 v27, v26, v27
	s_waitcnt lgkmcnt(0)
	v_add_f32_e32 v27, v27, v28
	v_add_f32_e32 v27, v27, v29
	v_cmp_eq_u32_e64 s[50:51], 0, v33
	v_cmp_lt_u32_e64 s[52:53], 3, v33
	v_mov_b32_dpp v28, v27 row_shr:1 row_mask:0xf bank_mask:0xf
	v_add_f32_e32 v28, v27, v28
	v_cndmask_b32_e64 v27, v28, v27, s[50:51]
	v_cmp_lt_u32_e64 s[50:51], 1, v33
	v_cmp_lt_u32_e64 s[54:55], 31, v32
	v_mov_b32_dpp v28, v27 row_shr:2 row_mask:0xf bank_mask:0xf
	v_add_f32_e32 v28, v27, v28
	v_cndmask_b32_e64 v28, v27, v28, s[50:51]
	; wave barrier
	s_nop 1
	v_mov_b32_dpp v29, v28 row_shr:4 row_mask:0xf bank_mask:0xf
	v_add_f32_e32 v29, v28, v29
	v_cndmask_b32_e64 v28, v28, v29, s[52:53]
	v_cmp_lt_u32_e64 s[52:53], 7, v33
	v_and_b32_e32 v33, 16, v32
	v_mov_b32_dpp v29, v28 row_shr:8 row_mask:0xf bank_mask:0xf
	v_add_f32_e32 v29, v28, v29
	v_cndmask_b32_e64 v28, v28, v29, s[52:53]
	v_cmp_eq_u32_e64 s[52:53], 0, v33
	s_nop 0
	v_mov_b32_dpp v29, v28 row_bcast:15 row_mask:0xf bank_mask:0xf
	v_add_f32_e32 v29, v28, v29
	v_cndmask_b32_e64 v28, v29, v28, s[52:53]
	v_cmp_lt_u32_e64 s[52:53], 15, v32
	s_or_b64 s[50:51], s[52:53], s[50:51]
	v_mov_b32_dpp v29, v28 row_bcast:31 row_mask:0xf bank_mask:0xf
	v_add_f32_e32 v29, v28, v29
	v_cndmask_b32_e64 v28, v28, v29, s[54:55]
	v_cndmask_b32_e64 v27, v27, v28, s[50:51]
	v_add_u32_e32 v28, -1, v32
	v_and_b32_e32 v29, 64, v32
	v_cmp_lt_i32_e64 s[50:51], v28, v29
	s_nop 1
	v_cndmask_b32_e64 v28, v28, v32, s[50:51]
	v_lshlrev_b32_e32 v28, 2, v28
	ds_bpermute_b32 v27, v28, v27
	v_cmp_eq_u32_e64 s[50:51], 0, v0
	s_waitcnt lgkmcnt(0)
	v_add_f32_e32 v26, v26, v27
	v_cndmask_b32_e64 v5, v26, v5, s[50:51]
	ds_write_b32 v31, v5
	; wave barrier
	ds_read2_b32 v[26:27], v31 offset0:1 offset1:2
	ds_read_b32 v28, v31 offset:12
	s_waitcnt lgkmcnt(1)
	v_add_f32_e32 v5, v5, v26
	v_add_f32_e32 v26, v5, v27
	ds_write2_b32 v31, v5, v26 offset0:1 offset1:2
	s_waitcnt lgkmcnt(1)
	v_add_f32_e32 v5, v26, v28
	ds_write_b32 v31, v5 offset:12
.LBB58_50:
	s_or_b64 exec, exec, s[56:57]
	s_load_dwordx2 s[50:51], s[0:1], 0x18
	v_cmp_ne_u32_e64 s[0:1], 0, v0
	v_mov_b32_e32 v26, s58
	s_waitcnt lgkmcnt(0)
	s_barrier
	s_and_saveexec_b64 s[52:53], s[0:1]
	s_cbranch_execz .LBB58_52
; %bb.51:
	v_add_u32_e32 v5, -1, v0
	v_lshrrev_b32_e32 v26, 5, v5
	v_add_lshl_u32 v5, v26, v5, 2
	ds_read_b32 v5, v5
	s_waitcnt lgkmcnt(0)
	v_add_f32_e32 v26, s58, v5
.LBB58_52:
	s_or_b64 exec, exec, s[52:53]
	v_add_f32_e32 v27, v22, v26
	v_add_f32_e32 v28, v23, v27
	;; [unrolled: 1-line block ×22, first 2 shown]
	s_movk_i32 s0, 0xffa4
	v_add_f32_e32 v9, v4, v8
	v_mad_i32_i24 v0, v0, s0, v1
	s_barrier
	ds_write_b128 v1, v[26:29]
	ds_write_b128 v1, v[22:25] offset:16
	ds_write_b128 v1, v[18:21] offset:32
	;; [unrolled: 1-line block ×5, first 2 shown]
	s_waitcnt lgkmcnt(0)
	s_barrier
	ds_read2st64_b32 v[22:23], v0 offset0:4 offset1:8
	ds_read2st64_b32 v[20:21], v0 offset0:12 offset1:20
	;; [unrolled: 1-line block ×10, first 2 shown]
	ds_read_b32 v24, v30 offset:20480
	ds_read2st64_b32 v[0:1], v0 offset0:88 offset1:92
	v_mov_b32_e32 v31, 0
	v_lshl_add_u64 v[2:3], s[50:51], 0, v[30:31]
	s_and_saveexec_b64 s[0:1], vcc
	s_cbranch_execnz .LBB58_77
; %bb.53:
	s_or_b64 exec, exec, s[0:1]
	s_and_saveexec_b64 s[0:1], s[48:49]
	s_cbranch_execnz .LBB58_78
.LBB58_54:
	s_or_b64 exec, exec, s[0:1]
	s_and_saveexec_b64 s[0:1], s[2:3]
	s_cbranch_execnz .LBB58_79
.LBB58_55:
	s_or_b64 exec, exec, s[0:1]
	s_and_saveexec_b64 s[0:1], s[4:5]
	s_cbranch_execnz .LBB58_80
.LBB58_56:
	s_or_b64 exec, exec, s[0:1]
	s_and_saveexec_b64 s[0:1], s[6:7]
	s_cbranch_execnz .LBB58_81
.LBB58_57:
	s_or_b64 exec, exec, s[0:1]
	s_and_saveexec_b64 s[0:1], s[8:9]
	s_cbranch_execnz .LBB58_82
.LBB58_58:
	s_or_b64 exec, exec, s[0:1]
	s_and_saveexec_b64 s[0:1], s[10:11]
	s_cbranch_execnz .LBB58_83
.LBB58_59:
	s_or_b64 exec, exec, s[0:1]
	s_and_saveexec_b64 s[0:1], s[12:13]
	s_cbranch_execnz .LBB58_84
.LBB58_60:
	s_or_b64 exec, exec, s[0:1]
	s_and_saveexec_b64 s[0:1], s[14:15]
	s_cbranch_execnz .LBB58_85
.LBB58_61:
	s_or_b64 exec, exec, s[0:1]
	s_and_saveexec_b64 s[0:1], s[16:17]
	s_cbranch_execnz .LBB58_86
.LBB58_62:
	s_or_b64 exec, exec, s[0:1]
	s_and_saveexec_b64 s[0:1], s[18:19]
	s_cbranch_execnz .LBB58_87
.LBB58_63:
	s_or_b64 exec, exec, s[0:1]
	s_and_saveexec_b64 s[0:1], s[20:21]
	s_cbranch_execnz .LBB58_88
.LBB58_64:
	s_or_b64 exec, exec, s[0:1]
	s_and_saveexec_b64 s[0:1], s[22:23]
	s_cbranch_execnz .LBB58_89
.LBB58_65:
	s_or_b64 exec, exec, s[0:1]
	s_and_saveexec_b64 s[0:1], s[24:25]
	s_cbranch_execnz .LBB58_90
.LBB58_66:
	s_or_b64 exec, exec, s[0:1]
	s_and_saveexec_b64 s[0:1], s[26:27]
	s_cbranch_execnz .LBB58_91
.LBB58_67:
	s_or_b64 exec, exec, s[0:1]
	s_and_saveexec_b64 s[0:1], s[28:29]
	s_cbranch_execnz .LBB58_92
.LBB58_68:
	s_or_b64 exec, exec, s[0:1]
	s_and_saveexec_b64 s[0:1], s[30:31]
	s_cbranch_execnz .LBB58_93
.LBB58_69:
	s_or_b64 exec, exec, s[0:1]
	s_and_saveexec_b64 s[0:1], s[34:35]
	s_cbranch_execnz .LBB58_94
.LBB58_70:
	s_or_b64 exec, exec, s[0:1]
	s_and_saveexec_b64 s[0:1], s[36:37]
	s_cbranch_execnz .LBB58_95
.LBB58_71:
	s_or_b64 exec, exec, s[0:1]
	s_and_saveexec_b64 s[0:1], s[38:39]
	s_cbranch_execnz .LBB58_96
.LBB58_72:
	s_or_b64 exec, exec, s[0:1]
	s_and_saveexec_b64 s[0:1], s[40:41]
	s_cbranch_execnz .LBB58_97
.LBB58_73:
	s_or_b64 exec, exec, s[0:1]
	s_and_saveexec_b64 s[0:1], s[42:43]
	s_cbranch_execnz .LBB58_98
.LBB58_74:
	s_or_b64 exec, exec, s[0:1]
	s_and_saveexec_b64 s[0:1], s[44:45]
	s_cbranch_execnz .LBB58_99
.LBB58_75:
	s_or_b64 exec, exec, s[0:1]
	s_and_saveexec_b64 s[0:1], s[46:47]
	s_cbranch_execnz .LBB58_100
.LBB58_76:
	s_endpgm
.LBB58_77:
	ds_read_b32 v25, v30
	s_waitcnt lgkmcnt(0)
	global_store_dword v[2:3], v25, off
	s_or_b64 exec, exec, s[0:1]
	s_and_saveexec_b64 s[0:1], s[48:49]
	s_cbranch_execz .LBB58_54
.LBB58_78:
	s_waitcnt lgkmcnt(11)
	global_store_dword v[2:3], v22, off offset:1024
	s_or_b64 exec, exec, s[0:1]
	s_and_saveexec_b64 s[0:1], s[2:3]
	s_cbranch_execz .LBB58_55
.LBB58_79:
	s_waitcnt lgkmcnt(11)
	global_store_dword v[2:3], v23, off offset:2048
	s_or_b64 exec, exec, s[0:1]
	s_and_saveexec_b64 s[0:1], s[4:5]
	s_cbranch_execz .LBB58_56
.LBB58_80:
	s_waitcnt lgkmcnt(10)
	global_store_dword v[2:3], v20, off offset:3072
	s_or_b64 exec, exec, s[0:1]
	s_and_saveexec_b64 s[0:1], s[6:7]
	s_cbranch_execz .LBB58_57
.LBB58_81:
	s_waitcnt lgkmcnt(11)
	v_add_co_u32_e32 v22, vcc, 0x1000, v2
	s_nop 1
	v_addc_co_u32_e32 v23, vcc, 0, v3, vcc
	s_waitcnt lgkmcnt(9)
	global_store_dword v[22:23], v16, off
	s_or_b64 exec, exec, s[0:1]
	s_and_saveexec_b64 s[0:1], s[8:9]
	s_cbranch_execz .LBB58_58
.LBB58_82:
	s_waitcnt lgkmcnt(11)
	v_add_co_u32_e32 v22, vcc, 0x1000, v2
	s_nop 1
	v_addc_co_u32_e32 v23, vcc, 0, v3, vcc
	s_waitcnt lgkmcnt(10)
	global_store_dword v[22:23], v21, off offset:1024
	s_or_b64 exec, exec, s[0:1]
	s_and_saveexec_b64 s[0:1], s[10:11]
	s_cbranch_execz .LBB58_59
.LBB58_83:
	s_waitcnt lgkmcnt(10)
	v_add_co_u32_e32 v20, vcc, 0x1000, v2
	s_nop 1
	v_addc_co_u32_e32 v21, vcc, 0, v3, vcc
	s_waitcnt lgkmcnt(8)
	global_store_dword v[20:21], v18, off offset:2048
	s_or_b64 exec, exec, s[0:1]
	s_and_saveexec_b64 s[0:1], s[12:13]
	s_cbranch_execz .LBB58_60
.LBB58_84:
	s_waitcnt lgkmcnt(10)
	v_add_co_u32_e32 v20, vcc, 0x1000, v2
	s_nop 1
	v_addc_co_u32_e32 v21, vcc, 0, v3, vcc
	s_waitcnt lgkmcnt(8)
	global_store_dword v[20:21], v19, off offset:3072
	s_or_b64 exec, exec, s[0:1]
	s_and_saveexec_b64 s[0:1], s[14:15]
	s_cbranch_execz .LBB58_61
.LBB58_85:
	s_waitcnt lgkmcnt(8)
	v_add_co_u32_e32 v18, vcc, 0x2000, v2
	s_nop 1
	v_addc_co_u32_e32 v19, vcc, 0, v3, vcc
	global_store_dword v[18:19], v17, off
	s_or_b64 exec, exec, s[0:1]
	s_and_saveexec_b64 s[0:1], s[16:17]
	s_cbranch_execz .LBB58_62
.LBB58_86:
	s_waitcnt lgkmcnt(9)
	v_add_co_u32_e32 v16, vcc, 0x2000, v2
	s_nop 1
	v_addc_co_u32_e32 v17, vcc, 0, v3, vcc
	s_waitcnt lgkmcnt(7)
	global_store_dword v[16:17], v14, off offset:1024
	s_or_b64 exec, exec, s[0:1]
	s_and_saveexec_b64 s[0:1], s[18:19]
	s_cbranch_execz .LBB58_63
.LBB58_87:
	s_waitcnt lgkmcnt(9)
	v_add_co_u32_e32 v16, vcc, 0x2000, v2
	s_nop 1
	v_addc_co_u32_e32 v17, vcc, 0, v3, vcc
	s_waitcnt lgkmcnt(7)
	global_store_dword v[16:17], v15, off offset:2048
	s_or_b64 exec, exec, s[0:1]
	s_and_saveexec_b64 s[0:1], s[20:21]
	s_cbranch_execz .LBB58_64
.LBB58_88:
	s_waitcnt lgkmcnt(7)
	v_add_co_u32_e32 v14, vcc, 0x2000, v2
	s_nop 1
	v_addc_co_u32_e32 v15, vcc, 0, v3, vcc
	s_waitcnt lgkmcnt(6)
	global_store_dword v[14:15], v12, off offset:3072
	s_or_b64 exec, exec, s[0:1]
	s_and_saveexec_b64 s[0:1], s[22:23]
	s_cbranch_execz .LBB58_65
.LBB58_89:
	s_waitcnt lgkmcnt(7)
	v_add_co_u32_e32 v14, vcc, 0x3000, v2
	s_nop 1
	v_addc_co_u32_e32 v15, vcc, 0, v3, vcc
	s_waitcnt lgkmcnt(5)
	global_store_dword v[14:15], v8, off
	s_or_b64 exec, exec, s[0:1]
	s_and_saveexec_b64 s[0:1], s[24:25]
	s_cbranch_execz .LBB58_66
.LBB58_90:
	s_waitcnt lgkmcnt(7)
	v_add_co_u32_e32 v14, vcc, 0x3000, v2
	s_nop 1
	v_addc_co_u32_e32 v15, vcc, 0, v3, vcc
	s_waitcnt lgkmcnt(6)
	global_store_dword v[14:15], v13, off offset:1024
	s_or_b64 exec, exec, s[0:1]
	s_and_saveexec_b64 s[0:1], s[26:27]
	s_cbranch_execz .LBB58_67
.LBB58_91:
	s_waitcnt lgkmcnt(6)
	v_add_co_u32_e32 v12, vcc, 0x3000, v2
	s_nop 1
	v_addc_co_u32_e32 v13, vcc, 0, v3, vcc
	s_waitcnt lgkmcnt(4)
	global_store_dword v[12:13], v10, off offset:2048
	s_or_b64 exec, exec, s[0:1]
	s_and_saveexec_b64 s[0:1], s[28:29]
	s_cbranch_execz .LBB58_68
.LBB58_92:
	s_waitcnt lgkmcnt(6)
	v_add_co_u32_e32 v12, vcc, 0x3000, v2
	s_nop 1
	v_addc_co_u32_e32 v13, vcc, 0, v3, vcc
	s_waitcnt lgkmcnt(4)
	global_store_dword v[12:13], v11, off offset:3072
	s_or_b64 exec, exec, s[0:1]
	s_and_saveexec_b64 s[0:1], s[30:31]
	s_cbranch_execz .LBB58_69
.LBB58_93:
	s_waitcnt lgkmcnt(4)
	v_add_co_u32_e32 v10, vcc, 0x4000, v2
	s_nop 1
	v_addc_co_u32_e32 v11, vcc, 0, v3, vcc
	global_store_dword v[10:11], v9, off
	s_or_b64 exec, exec, s[0:1]
	s_and_saveexec_b64 s[0:1], s[34:35]
	s_cbranch_execz .LBB58_70
.LBB58_94:
	s_waitcnt lgkmcnt(5)
	v_add_co_u32_e32 v8, vcc, 0x4000, v2
	s_nop 1
	v_addc_co_u32_e32 v9, vcc, 0, v3, vcc
	s_waitcnt lgkmcnt(3)
	global_store_dword v[8:9], v6, off offset:1024
	s_or_b64 exec, exec, s[0:1]
	s_and_saveexec_b64 s[0:1], s[36:37]
	s_cbranch_execz .LBB58_71
.LBB58_95:
	s_waitcnt lgkmcnt(5)
	v_add_co_u32_e32 v8, vcc, 0x4000, v2
	s_nop 1
	v_addc_co_u32_e32 v9, vcc, 0, v3, vcc
	s_waitcnt lgkmcnt(3)
	global_store_dword v[8:9], v7, off offset:2048
	s_or_b64 exec, exec, s[0:1]
	s_and_saveexec_b64 s[0:1], s[38:39]
	s_cbranch_execz .LBB58_72
.LBB58_96:
	s_waitcnt lgkmcnt(3)
	v_add_co_u32_e32 v6, vcc, 0x4000, v2
	s_nop 1
	v_addc_co_u32_e32 v7, vcc, 0, v3, vcc
	s_waitcnt lgkmcnt(2)
	global_store_dword v[6:7], v4, off offset:3072
	s_or_b64 exec, exec, s[0:1]
	s_and_saveexec_b64 s[0:1], s[40:41]
	s_cbranch_execz .LBB58_73
.LBB58_97:
	s_waitcnt lgkmcnt(3)
	v_add_co_u32_e32 v6, vcc, 0x5000, v2
	s_nop 1
	v_addc_co_u32_e32 v7, vcc, 0, v3, vcc
	s_waitcnt lgkmcnt(1)
	global_store_dword v[6:7], v24, off
	s_or_b64 exec, exec, s[0:1]
	s_and_saveexec_b64 s[0:1], s[42:43]
	s_cbranch_execz .LBB58_74
.LBB58_98:
	s_waitcnt lgkmcnt(3)
	v_add_co_u32_e32 v6, vcc, 0x5000, v2
	s_nop 1
	v_addc_co_u32_e32 v7, vcc, 0, v3, vcc
	s_waitcnt lgkmcnt(2)
	global_store_dword v[6:7], v5, off offset:1024
	s_or_b64 exec, exec, s[0:1]
	s_and_saveexec_b64 s[0:1], s[44:45]
	s_cbranch_execz .LBB58_75
.LBB58_99:
	s_waitcnt lgkmcnt(2)
	v_add_co_u32_e32 v4, vcc, 0x5000, v2
	s_nop 1
	v_addc_co_u32_e32 v5, vcc, 0, v3, vcc
	s_waitcnt lgkmcnt(0)
	global_store_dword v[4:5], v0, off offset:2048
	s_or_b64 exec, exec, s[0:1]
	s_and_saveexec_b64 s[0:1], s[46:47]
	s_cbranch_execz .LBB58_76
.LBB58_100:
	v_add_co_u32_e32 v2, vcc, 0x5000, v2
	s_nop 1
	v_addc_co_u32_e32 v3, vcc, 0, v3, vcc
	s_waitcnt lgkmcnt(0)
	global_store_dword v[2:3], v1, off offset:3072
	s_endpgm
	.section	.rodata,"a",@progbits
	.p2align	6, 0x0
	.amdhsa_kernel _ZN7rocprim17ROCPRIM_400000_NS6detail17trampoline_kernelINS0_14default_configENS1_20scan_config_selectorIfEEZZNS1_9scan_implILNS1_25lookback_scan_determinismE0ELb1ELb1ES3_N6thrust23THRUST_200600_302600_NS6detail15normal_iteratorINS9_10device_ptrIKfEEEENSB_INSC_IfEEEEfNS9_4plusIvEEfEEDaPvRmT3_T4_T5_mT6_P12ihipStream_tbENKUlT_T0_E_clISt17integral_constantIbLb1EESW_IbLb0EEEEDaSS_ST_EUlSS_E0_NS1_11comp_targetILNS1_3genE5ELNS1_11target_archE942ELNS1_3gpuE9ELNS1_3repE0EEENS1_30default_config_static_selectorELNS0_4arch9wavefront6targetE1EEEvT1_
		.amdhsa_group_segment_fixed_size 24576
		.amdhsa_private_segment_fixed_size 0
		.amdhsa_kernarg_size 32
		.amdhsa_user_sgpr_count 2
		.amdhsa_user_sgpr_dispatch_ptr 0
		.amdhsa_user_sgpr_queue_ptr 0
		.amdhsa_user_sgpr_kernarg_segment_ptr 1
		.amdhsa_user_sgpr_dispatch_id 0
		.amdhsa_user_sgpr_kernarg_preload_length 0
		.amdhsa_user_sgpr_kernarg_preload_offset 0
		.amdhsa_user_sgpr_private_segment_size 0
		.amdhsa_uses_dynamic_stack 0
		.amdhsa_enable_private_segment 0
		.amdhsa_system_sgpr_workgroup_id_x 1
		.amdhsa_system_sgpr_workgroup_id_y 0
		.amdhsa_system_sgpr_workgroup_id_z 0
		.amdhsa_system_sgpr_workgroup_info 0
		.amdhsa_system_vgpr_workitem_id 0
		.amdhsa_next_free_vgpr 34
		.amdhsa_next_free_sgpr 59
		.amdhsa_accum_offset 36
		.amdhsa_reserve_vcc 1
		.amdhsa_float_round_mode_32 0
		.amdhsa_float_round_mode_16_64 0
		.amdhsa_float_denorm_mode_32 3
		.amdhsa_float_denorm_mode_16_64 3
		.amdhsa_dx10_clamp 1
		.amdhsa_ieee_mode 1
		.amdhsa_fp16_overflow 0
		.amdhsa_tg_split 0
		.amdhsa_exception_fp_ieee_invalid_op 0
		.amdhsa_exception_fp_denorm_src 0
		.amdhsa_exception_fp_ieee_div_zero 0
		.amdhsa_exception_fp_ieee_overflow 0
		.amdhsa_exception_fp_ieee_underflow 0
		.amdhsa_exception_fp_ieee_inexact 0
		.amdhsa_exception_int_div_zero 0
	.end_amdhsa_kernel
	.section	.text._ZN7rocprim17ROCPRIM_400000_NS6detail17trampoline_kernelINS0_14default_configENS1_20scan_config_selectorIfEEZZNS1_9scan_implILNS1_25lookback_scan_determinismE0ELb1ELb1ES3_N6thrust23THRUST_200600_302600_NS6detail15normal_iteratorINS9_10device_ptrIKfEEEENSB_INSC_IfEEEEfNS9_4plusIvEEfEEDaPvRmT3_T4_T5_mT6_P12ihipStream_tbENKUlT_T0_E_clISt17integral_constantIbLb1EESW_IbLb0EEEEDaSS_ST_EUlSS_E0_NS1_11comp_targetILNS1_3genE5ELNS1_11target_archE942ELNS1_3gpuE9ELNS1_3repE0EEENS1_30default_config_static_selectorELNS0_4arch9wavefront6targetE1EEEvT1_,"axG",@progbits,_ZN7rocprim17ROCPRIM_400000_NS6detail17trampoline_kernelINS0_14default_configENS1_20scan_config_selectorIfEEZZNS1_9scan_implILNS1_25lookback_scan_determinismE0ELb1ELb1ES3_N6thrust23THRUST_200600_302600_NS6detail15normal_iteratorINS9_10device_ptrIKfEEEENSB_INSC_IfEEEEfNS9_4plusIvEEfEEDaPvRmT3_T4_T5_mT6_P12ihipStream_tbENKUlT_T0_E_clISt17integral_constantIbLb1EESW_IbLb0EEEEDaSS_ST_EUlSS_E0_NS1_11comp_targetILNS1_3genE5ELNS1_11target_archE942ELNS1_3gpuE9ELNS1_3repE0EEENS1_30default_config_static_selectorELNS0_4arch9wavefront6targetE1EEEvT1_,comdat
.Lfunc_end58:
	.size	_ZN7rocprim17ROCPRIM_400000_NS6detail17trampoline_kernelINS0_14default_configENS1_20scan_config_selectorIfEEZZNS1_9scan_implILNS1_25lookback_scan_determinismE0ELb1ELb1ES3_N6thrust23THRUST_200600_302600_NS6detail15normal_iteratorINS9_10device_ptrIKfEEEENSB_INSC_IfEEEEfNS9_4plusIvEEfEEDaPvRmT3_T4_T5_mT6_P12ihipStream_tbENKUlT_T0_E_clISt17integral_constantIbLb1EESW_IbLb0EEEEDaSS_ST_EUlSS_E0_NS1_11comp_targetILNS1_3genE5ELNS1_11target_archE942ELNS1_3gpuE9ELNS1_3repE0EEENS1_30default_config_static_selectorELNS0_4arch9wavefront6targetE1EEEvT1_, .Lfunc_end58-_ZN7rocprim17ROCPRIM_400000_NS6detail17trampoline_kernelINS0_14default_configENS1_20scan_config_selectorIfEEZZNS1_9scan_implILNS1_25lookback_scan_determinismE0ELb1ELb1ES3_N6thrust23THRUST_200600_302600_NS6detail15normal_iteratorINS9_10device_ptrIKfEEEENSB_INSC_IfEEEEfNS9_4plusIvEEfEEDaPvRmT3_T4_T5_mT6_P12ihipStream_tbENKUlT_T0_E_clISt17integral_constantIbLb1EESW_IbLb0EEEEDaSS_ST_EUlSS_E0_NS1_11comp_targetILNS1_3genE5ELNS1_11target_archE942ELNS1_3gpuE9ELNS1_3repE0EEENS1_30default_config_static_selectorELNS0_4arch9wavefront6targetE1EEEvT1_
                                        ; -- End function
	.section	.AMDGPU.csdata,"",@progbits
; Kernel info:
; codeLenInByte = 3384
; NumSgprs: 65
; NumVgprs: 34
; NumAgprs: 0
; TotalNumVgprs: 34
; ScratchSize: 0
; MemoryBound: 0
; FloatMode: 240
; IeeeMode: 1
; LDSByteSize: 24576 bytes/workgroup (compile time only)
; SGPRBlocks: 8
; VGPRBlocks: 4
; NumSGPRsForWavesPerEU: 65
; NumVGPRsForWavesPerEU: 34
; AccumOffset: 36
; Occupancy: 2
; WaveLimiterHint : 0
; COMPUTE_PGM_RSRC2:SCRATCH_EN: 0
; COMPUTE_PGM_RSRC2:USER_SGPR: 2
; COMPUTE_PGM_RSRC2:TRAP_HANDLER: 0
; COMPUTE_PGM_RSRC2:TGID_X_EN: 1
; COMPUTE_PGM_RSRC2:TGID_Y_EN: 0
; COMPUTE_PGM_RSRC2:TGID_Z_EN: 0
; COMPUTE_PGM_RSRC2:TIDIG_COMP_CNT: 0
; COMPUTE_PGM_RSRC3_GFX90A:ACCUM_OFFSET: 8
; COMPUTE_PGM_RSRC3_GFX90A:TG_SPLIT: 0
	.section	.text._ZN7rocprim17ROCPRIM_400000_NS6detail17trampoline_kernelINS0_14default_configENS1_20scan_config_selectorIfEEZZNS1_9scan_implILNS1_25lookback_scan_determinismE0ELb1ELb1ES3_N6thrust23THRUST_200600_302600_NS6detail15normal_iteratorINS9_10device_ptrIKfEEEENSB_INSC_IfEEEEfNS9_4plusIvEEfEEDaPvRmT3_T4_T5_mT6_P12ihipStream_tbENKUlT_T0_E_clISt17integral_constantIbLb1EESW_IbLb0EEEEDaSS_ST_EUlSS_E0_NS1_11comp_targetILNS1_3genE4ELNS1_11target_archE910ELNS1_3gpuE8ELNS1_3repE0EEENS1_30default_config_static_selectorELNS0_4arch9wavefront6targetE1EEEvT1_,"axG",@progbits,_ZN7rocprim17ROCPRIM_400000_NS6detail17trampoline_kernelINS0_14default_configENS1_20scan_config_selectorIfEEZZNS1_9scan_implILNS1_25lookback_scan_determinismE0ELb1ELb1ES3_N6thrust23THRUST_200600_302600_NS6detail15normal_iteratorINS9_10device_ptrIKfEEEENSB_INSC_IfEEEEfNS9_4plusIvEEfEEDaPvRmT3_T4_T5_mT6_P12ihipStream_tbENKUlT_T0_E_clISt17integral_constantIbLb1EESW_IbLb0EEEEDaSS_ST_EUlSS_E0_NS1_11comp_targetILNS1_3genE4ELNS1_11target_archE910ELNS1_3gpuE8ELNS1_3repE0EEENS1_30default_config_static_selectorELNS0_4arch9wavefront6targetE1EEEvT1_,comdat
	.protected	_ZN7rocprim17ROCPRIM_400000_NS6detail17trampoline_kernelINS0_14default_configENS1_20scan_config_selectorIfEEZZNS1_9scan_implILNS1_25lookback_scan_determinismE0ELb1ELb1ES3_N6thrust23THRUST_200600_302600_NS6detail15normal_iteratorINS9_10device_ptrIKfEEEENSB_INSC_IfEEEEfNS9_4plusIvEEfEEDaPvRmT3_T4_T5_mT6_P12ihipStream_tbENKUlT_T0_E_clISt17integral_constantIbLb1EESW_IbLb0EEEEDaSS_ST_EUlSS_E0_NS1_11comp_targetILNS1_3genE4ELNS1_11target_archE910ELNS1_3gpuE8ELNS1_3repE0EEENS1_30default_config_static_selectorELNS0_4arch9wavefront6targetE1EEEvT1_ ; -- Begin function _ZN7rocprim17ROCPRIM_400000_NS6detail17trampoline_kernelINS0_14default_configENS1_20scan_config_selectorIfEEZZNS1_9scan_implILNS1_25lookback_scan_determinismE0ELb1ELb1ES3_N6thrust23THRUST_200600_302600_NS6detail15normal_iteratorINS9_10device_ptrIKfEEEENSB_INSC_IfEEEEfNS9_4plusIvEEfEEDaPvRmT3_T4_T5_mT6_P12ihipStream_tbENKUlT_T0_E_clISt17integral_constantIbLb1EESW_IbLb0EEEEDaSS_ST_EUlSS_E0_NS1_11comp_targetILNS1_3genE4ELNS1_11target_archE910ELNS1_3gpuE8ELNS1_3repE0EEENS1_30default_config_static_selectorELNS0_4arch9wavefront6targetE1EEEvT1_
	.globl	_ZN7rocprim17ROCPRIM_400000_NS6detail17trampoline_kernelINS0_14default_configENS1_20scan_config_selectorIfEEZZNS1_9scan_implILNS1_25lookback_scan_determinismE0ELb1ELb1ES3_N6thrust23THRUST_200600_302600_NS6detail15normal_iteratorINS9_10device_ptrIKfEEEENSB_INSC_IfEEEEfNS9_4plusIvEEfEEDaPvRmT3_T4_T5_mT6_P12ihipStream_tbENKUlT_T0_E_clISt17integral_constantIbLb1EESW_IbLb0EEEEDaSS_ST_EUlSS_E0_NS1_11comp_targetILNS1_3genE4ELNS1_11target_archE910ELNS1_3gpuE8ELNS1_3repE0EEENS1_30default_config_static_selectorELNS0_4arch9wavefront6targetE1EEEvT1_
	.p2align	8
	.type	_ZN7rocprim17ROCPRIM_400000_NS6detail17trampoline_kernelINS0_14default_configENS1_20scan_config_selectorIfEEZZNS1_9scan_implILNS1_25lookback_scan_determinismE0ELb1ELb1ES3_N6thrust23THRUST_200600_302600_NS6detail15normal_iteratorINS9_10device_ptrIKfEEEENSB_INSC_IfEEEEfNS9_4plusIvEEfEEDaPvRmT3_T4_T5_mT6_P12ihipStream_tbENKUlT_T0_E_clISt17integral_constantIbLb1EESW_IbLb0EEEEDaSS_ST_EUlSS_E0_NS1_11comp_targetILNS1_3genE4ELNS1_11target_archE910ELNS1_3gpuE8ELNS1_3repE0EEENS1_30default_config_static_selectorELNS0_4arch9wavefront6targetE1EEEvT1_,@function
_ZN7rocprim17ROCPRIM_400000_NS6detail17trampoline_kernelINS0_14default_configENS1_20scan_config_selectorIfEEZZNS1_9scan_implILNS1_25lookback_scan_determinismE0ELb1ELb1ES3_N6thrust23THRUST_200600_302600_NS6detail15normal_iteratorINS9_10device_ptrIKfEEEENSB_INSC_IfEEEEfNS9_4plusIvEEfEEDaPvRmT3_T4_T5_mT6_P12ihipStream_tbENKUlT_T0_E_clISt17integral_constantIbLb1EESW_IbLb0EEEEDaSS_ST_EUlSS_E0_NS1_11comp_targetILNS1_3genE4ELNS1_11target_archE910ELNS1_3gpuE8ELNS1_3repE0EEENS1_30default_config_static_selectorELNS0_4arch9wavefront6targetE1EEEvT1_: ; @_ZN7rocprim17ROCPRIM_400000_NS6detail17trampoline_kernelINS0_14default_configENS1_20scan_config_selectorIfEEZZNS1_9scan_implILNS1_25lookback_scan_determinismE0ELb1ELb1ES3_N6thrust23THRUST_200600_302600_NS6detail15normal_iteratorINS9_10device_ptrIKfEEEENSB_INSC_IfEEEEfNS9_4plusIvEEfEEDaPvRmT3_T4_T5_mT6_P12ihipStream_tbENKUlT_T0_E_clISt17integral_constantIbLb1EESW_IbLb0EEEEDaSS_ST_EUlSS_E0_NS1_11comp_targetILNS1_3genE4ELNS1_11target_archE910ELNS1_3gpuE8ELNS1_3repE0EEENS1_30default_config_static_selectorELNS0_4arch9wavefront6targetE1EEEvT1_
; %bb.0:
	.section	.rodata,"a",@progbits
	.p2align	6, 0x0
	.amdhsa_kernel _ZN7rocprim17ROCPRIM_400000_NS6detail17trampoline_kernelINS0_14default_configENS1_20scan_config_selectorIfEEZZNS1_9scan_implILNS1_25lookback_scan_determinismE0ELb1ELb1ES3_N6thrust23THRUST_200600_302600_NS6detail15normal_iteratorINS9_10device_ptrIKfEEEENSB_INSC_IfEEEEfNS9_4plusIvEEfEEDaPvRmT3_T4_T5_mT6_P12ihipStream_tbENKUlT_T0_E_clISt17integral_constantIbLb1EESW_IbLb0EEEEDaSS_ST_EUlSS_E0_NS1_11comp_targetILNS1_3genE4ELNS1_11target_archE910ELNS1_3gpuE8ELNS1_3repE0EEENS1_30default_config_static_selectorELNS0_4arch9wavefront6targetE1EEEvT1_
		.amdhsa_group_segment_fixed_size 0
		.amdhsa_private_segment_fixed_size 0
		.amdhsa_kernarg_size 32
		.amdhsa_user_sgpr_count 2
		.amdhsa_user_sgpr_dispatch_ptr 0
		.amdhsa_user_sgpr_queue_ptr 0
		.amdhsa_user_sgpr_kernarg_segment_ptr 1
		.amdhsa_user_sgpr_dispatch_id 0
		.amdhsa_user_sgpr_kernarg_preload_length 0
		.amdhsa_user_sgpr_kernarg_preload_offset 0
		.amdhsa_user_sgpr_private_segment_size 0
		.amdhsa_uses_dynamic_stack 0
		.amdhsa_enable_private_segment 0
		.amdhsa_system_sgpr_workgroup_id_x 1
		.amdhsa_system_sgpr_workgroup_id_y 0
		.amdhsa_system_sgpr_workgroup_id_z 0
		.amdhsa_system_sgpr_workgroup_info 0
		.amdhsa_system_vgpr_workitem_id 0
		.amdhsa_next_free_vgpr 1
		.amdhsa_next_free_sgpr 0
		.amdhsa_accum_offset 4
		.amdhsa_reserve_vcc 0
		.amdhsa_float_round_mode_32 0
		.amdhsa_float_round_mode_16_64 0
		.amdhsa_float_denorm_mode_32 3
		.amdhsa_float_denorm_mode_16_64 3
		.amdhsa_dx10_clamp 1
		.amdhsa_ieee_mode 1
		.amdhsa_fp16_overflow 0
		.amdhsa_tg_split 0
		.amdhsa_exception_fp_ieee_invalid_op 0
		.amdhsa_exception_fp_denorm_src 0
		.amdhsa_exception_fp_ieee_div_zero 0
		.amdhsa_exception_fp_ieee_overflow 0
		.amdhsa_exception_fp_ieee_underflow 0
		.amdhsa_exception_fp_ieee_inexact 0
		.amdhsa_exception_int_div_zero 0
	.end_amdhsa_kernel
	.section	.text._ZN7rocprim17ROCPRIM_400000_NS6detail17trampoline_kernelINS0_14default_configENS1_20scan_config_selectorIfEEZZNS1_9scan_implILNS1_25lookback_scan_determinismE0ELb1ELb1ES3_N6thrust23THRUST_200600_302600_NS6detail15normal_iteratorINS9_10device_ptrIKfEEEENSB_INSC_IfEEEEfNS9_4plusIvEEfEEDaPvRmT3_T4_T5_mT6_P12ihipStream_tbENKUlT_T0_E_clISt17integral_constantIbLb1EESW_IbLb0EEEEDaSS_ST_EUlSS_E0_NS1_11comp_targetILNS1_3genE4ELNS1_11target_archE910ELNS1_3gpuE8ELNS1_3repE0EEENS1_30default_config_static_selectorELNS0_4arch9wavefront6targetE1EEEvT1_,"axG",@progbits,_ZN7rocprim17ROCPRIM_400000_NS6detail17trampoline_kernelINS0_14default_configENS1_20scan_config_selectorIfEEZZNS1_9scan_implILNS1_25lookback_scan_determinismE0ELb1ELb1ES3_N6thrust23THRUST_200600_302600_NS6detail15normal_iteratorINS9_10device_ptrIKfEEEENSB_INSC_IfEEEEfNS9_4plusIvEEfEEDaPvRmT3_T4_T5_mT6_P12ihipStream_tbENKUlT_T0_E_clISt17integral_constantIbLb1EESW_IbLb0EEEEDaSS_ST_EUlSS_E0_NS1_11comp_targetILNS1_3genE4ELNS1_11target_archE910ELNS1_3gpuE8ELNS1_3repE0EEENS1_30default_config_static_selectorELNS0_4arch9wavefront6targetE1EEEvT1_,comdat
.Lfunc_end59:
	.size	_ZN7rocprim17ROCPRIM_400000_NS6detail17trampoline_kernelINS0_14default_configENS1_20scan_config_selectorIfEEZZNS1_9scan_implILNS1_25lookback_scan_determinismE0ELb1ELb1ES3_N6thrust23THRUST_200600_302600_NS6detail15normal_iteratorINS9_10device_ptrIKfEEEENSB_INSC_IfEEEEfNS9_4plusIvEEfEEDaPvRmT3_T4_T5_mT6_P12ihipStream_tbENKUlT_T0_E_clISt17integral_constantIbLb1EESW_IbLb0EEEEDaSS_ST_EUlSS_E0_NS1_11comp_targetILNS1_3genE4ELNS1_11target_archE910ELNS1_3gpuE8ELNS1_3repE0EEENS1_30default_config_static_selectorELNS0_4arch9wavefront6targetE1EEEvT1_, .Lfunc_end59-_ZN7rocprim17ROCPRIM_400000_NS6detail17trampoline_kernelINS0_14default_configENS1_20scan_config_selectorIfEEZZNS1_9scan_implILNS1_25lookback_scan_determinismE0ELb1ELb1ES3_N6thrust23THRUST_200600_302600_NS6detail15normal_iteratorINS9_10device_ptrIKfEEEENSB_INSC_IfEEEEfNS9_4plusIvEEfEEDaPvRmT3_T4_T5_mT6_P12ihipStream_tbENKUlT_T0_E_clISt17integral_constantIbLb1EESW_IbLb0EEEEDaSS_ST_EUlSS_E0_NS1_11comp_targetILNS1_3genE4ELNS1_11target_archE910ELNS1_3gpuE8ELNS1_3repE0EEENS1_30default_config_static_selectorELNS0_4arch9wavefront6targetE1EEEvT1_
                                        ; -- End function
	.section	.AMDGPU.csdata,"",@progbits
; Kernel info:
; codeLenInByte = 0
; NumSgprs: 6
; NumVgprs: 0
; NumAgprs: 0
; TotalNumVgprs: 0
; ScratchSize: 0
; MemoryBound: 0
; FloatMode: 240
; IeeeMode: 1
; LDSByteSize: 0 bytes/workgroup (compile time only)
; SGPRBlocks: 0
; VGPRBlocks: 0
; NumSGPRsForWavesPerEU: 6
; NumVGPRsForWavesPerEU: 1
; AccumOffset: 4
; Occupancy: 8
; WaveLimiterHint : 0
; COMPUTE_PGM_RSRC2:SCRATCH_EN: 0
; COMPUTE_PGM_RSRC2:USER_SGPR: 2
; COMPUTE_PGM_RSRC2:TRAP_HANDLER: 0
; COMPUTE_PGM_RSRC2:TGID_X_EN: 1
; COMPUTE_PGM_RSRC2:TGID_Y_EN: 0
; COMPUTE_PGM_RSRC2:TGID_Z_EN: 0
; COMPUTE_PGM_RSRC2:TIDIG_COMP_CNT: 0
; COMPUTE_PGM_RSRC3_GFX90A:ACCUM_OFFSET: 0
; COMPUTE_PGM_RSRC3_GFX90A:TG_SPLIT: 0
	.section	.text._ZN7rocprim17ROCPRIM_400000_NS6detail17trampoline_kernelINS0_14default_configENS1_20scan_config_selectorIfEEZZNS1_9scan_implILNS1_25lookback_scan_determinismE0ELb1ELb1ES3_N6thrust23THRUST_200600_302600_NS6detail15normal_iteratorINS9_10device_ptrIKfEEEENSB_INSC_IfEEEEfNS9_4plusIvEEfEEDaPvRmT3_T4_T5_mT6_P12ihipStream_tbENKUlT_T0_E_clISt17integral_constantIbLb1EESW_IbLb0EEEEDaSS_ST_EUlSS_E0_NS1_11comp_targetILNS1_3genE3ELNS1_11target_archE908ELNS1_3gpuE7ELNS1_3repE0EEENS1_30default_config_static_selectorELNS0_4arch9wavefront6targetE1EEEvT1_,"axG",@progbits,_ZN7rocprim17ROCPRIM_400000_NS6detail17trampoline_kernelINS0_14default_configENS1_20scan_config_selectorIfEEZZNS1_9scan_implILNS1_25lookback_scan_determinismE0ELb1ELb1ES3_N6thrust23THRUST_200600_302600_NS6detail15normal_iteratorINS9_10device_ptrIKfEEEENSB_INSC_IfEEEEfNS9_4plusIvEEfEEDaPvRmT3_T4_T5_mT6_P12ihipStream_tbENKUlT_T0_E_clISt17integral_constantIbLb1EESW_IbLb0EEEEDaSS_ST_EUlSS_E0_NS1_11comp_targetILNS1_3genE3ELNS1_11target_archE908ELNS1_3gpuE7ELNS1_3repE0EEENS1_30default_config_static_selectorELNS0_4arch9wavefront6targetE1EEEvT1_,comdat
	.protected	_ZN7rocprim17ROCPRIM_400000_NS6detail17trampoline_kernelINS0_14default_configENS1_20scan_config_selectorIfEEZZNS1_9scan_implILNS1_25lookback_scan_determinismE0ELb1ELb1ES3_N6thrust23THRUST_200600_302600_NS6detail15normal_iteratorINS9_10device_ptrIKfEEEENSB_INSC_IfEEEEfNS9_4plusIvEEfEEDaPvRmT3_T4_T5_mT6_P12ihipStream_tbENKUlT_T0_E_clISt17integral_constantIbLb1EESW_IbLb0EEEEDaSS_ST_EUlSS_E0_NS1_11comp_targetILNS1_3genE3ELNS1_11target_archE908ELNS1_3gpuE7ELNS1_3repE0EEENS1_30default_config_static_selectorELNS0_4arch9wavefront6targetE1EEEvT1_ ; -- Begin function _ZN7rocprim17ROCPRIM_400000_NS6detail17trampoline_kernelINS0_14default_configENS1_20scan_config_selectorIfEEZZNS1_9scan_implILNS1_25lookback_scan_determinismE0ELb1ELb1ES3_N6thrust23THRUST_200600_302600_NS6detail15normal_iteratorINS9_10device_ptrIKfEEEENSB_INSC_IfEEEEfNS9_4plusIvEEfEEDaPvRmT3_T4_T5_mT6_P12ihipStream_tbENKUlT_T0_E_clISt17integral_constantIbLb1EESW_IbLb0EEEEDaSS_ST_EUlSS_E0_NS1_11comp_targetILNS1_3genE3ELNS1_11target_archE908ELNS1_3gpuE7ELNS1_3repE0EEENS1_30default_config_static_selectorELNS0_4arch9wavefront6targetE1EEEvT1_
	.globl	_ZN7rocprim17ROCPRIM_400000_NS6detail17trampoline_kernelINS0_14default_configENS1_20scan_config_selectorIfEEZZNS1_9scan_implILNS1_25lookback_scan_determinismE0ELb1ELb1ES3_N6thrust23THRUST_200600_302600_NS6detail15normal_iteratorINS9_10device_ptrIKfEEEENSB_INSC_IfEEEEfNS9_4plusIvEEfEEDaPvRmT3_T4_T5_mT6_P12ihipStream_tbENKUlT_T0_E_clISt17integral_constantIbLb1EESW_IbLb0EEEEDaSS_ST_EUlSS_E0_NS1_11comp_targetILNS1_3genE3ELNS1_11target_archE908ELNS1_3gpuE7ELNS1_3repE0EEENS1_30default_config_static_selectorELNS0_4arch9wavefront6targetE1EEEvT1_
	.p2align	8
	.type	_ZN7rocprim17ROCPRIM_400000_NS6detail17trampoline_kernelINS0_14default_configENS1_20scan_config_selectorIfEEZZNS1_9scan_implILNS1_25lookback_scan_determinismE0ELb1ELb1ES3_N6thrust23THRUST_200600_302600_NS6detail15normal_iteratorINS9_10device_ptrIKfEEEENSB_INSC_IfEEEEfNS9_4plusIvEEfEEDaPvRmT3_T4_T5_mT6_P12ihipStream_tbENKUlT_T0_E_clISt17integral_constantIbLb1EESW_IbLb0EEEEDaSS_ST_EUlSS_E0_NS1_11comp_targetILNS1_3genE3ELNS1_11target_archE908ELNS1_3gpuE7ELNS1_3repE0EEENS1_30default_config_static_selectorELNS0_4arch9wavefront6targetE1EEEvT1_,@function
_ZN7rocprim17ROCPRIM_400000_NS6detail17trampoline_kernelINS0_14default_configENS1_20scan_config_selectorIfEEZZNS1_9scan_implILNS1_25lookback_scan_determinismE0ELb1ELb1ES3_N6thrust23THRUST_200600_302600_NS6detail15normal_iteratorINS9_10device_ptrIKfEEEENSB_INSC_IfEEEEfNS9_4plusIvEEfEEDaPvRmT3_T4_T5_mT6_P12ihipStream_tbENKUlT_T0_E_clISt17integral_constantIbLb1EESW_IbLb0EEEEDaSS_ST_EUlSS_E0_NS1_11comp_targetILNS1_3genE3ELNS1_11target_archE908ELNS1_3gpuE7ELNS1_3repE0EEENS1_30default_config_static_selectorELNS0_4arch9wavefront6targetE1EEEvT1_: ; @_ZN7rocprim17ROCPRIM_400000_NS6detail17trampoline_kernelINS0_14default_configENS1_20scan_config_selectorIfEEZZNS1_9scan_implILNS1_25lookback_scan_determinismE0ELb1ELb1ES3_N6thrust23THRUST_200600_302600_NS6detail15normal_iteratorINS9_10device_ptrIKfEEEENSB_INSC_IfEEEEfNS9_4plusIvEEfEEDaPvRmT3_T4_T5_mT6_P12ihipStream_tbENKUlT_T0_E_clISt17integral_constantIbLb1EESW_IbLb0EEEEDaSS_ST_EUlSS_E0_NS1_11comp_targetILNS1_3genE3ELNS1_11target_archE908ELNS1_3gpuE7ELNS1_3repE0EEENS1_30default_config_static_selectorELNS0_4arch9wavefront6targetE1EEEvT1_
; %bb.0:
	.section	.rodata,"a",@progbits
	.p2align	6, 0x0
	.amdhsa_kernel _ZN7rocprim17ROCPRIM_400000_NS6detail17trampoline_kernelINS0_14default_configENS1_20scan_config_selectorIfEEZZNS1_9scan_implILNS1_25lookback_scan_determinismE0ELb1ELb1ES3_N6thrust23THRUST_200600_302600_NS6detail15normal_iteratorINS9_10device_ptrIKfEEEENSB_INSC_IfEEEEfNS9_4plusIvEEfEEDaPvRmT3_T4_T5_mT6_P12ihipStream_tbENKUlT_T0_E_clISt17integral_constantIbLb1EESW_IbLb0EEEEDaSS_ST_EUlSS_E0_NS1_11comp_targetILNS1_3genE3ELNS1_11target_archE908ELNS1_3gpuE7ELNS1_3repE0EEENS1_30default_config_static_selectorELNS0_4arch9wavefront6targetE1EEEvT1_
		.amdhsa_group_segment_fixed_size 0
		.amdhsa_private_segment_fixed_size 0
		.amdhsa_kernarg_size 32
		.amdhsa_user_sgpr_count 2
		.amdhsa_user_sgpr_dispatch_ptr 0
		.amdhsa_user_sgpr_queue_ptr 0
		.amdhsa_user_sgpr_kernarg_segment_ptr 1
		.amdhsa_user_sgpr_dispatch_id 0
		.amdhsa_user_sgpr_kernarg_preload_length 0
		.amdhsa_user_sgpr_kernarg_preload_offset 0
		.amdhsa_user_sgpr_private_segment_size 0
		.amdhsa_uses_dynamic_stack 0
		.amdhsa_enable_private_segment 0
		.amdhsa_system_sgpr_workgroup_id_x 1
		.amdhsa_system_sgpr_workgroup_id_y 0
		.amdhsa_system_sgpr_workgroup_id_z 0
		.amdhsa_system_sgpr_workgroup_info 0
		.amdhsa_system_vgpr_workitem_id 0
		.amdhsa_next_free_vgpr 1
		.amdhsa_next_free_sgpr 0
		.amdhsa_accum_offset 4
		.amdhsa_reserve_vcc 0
		.amdhsa_float_round_mode_32 0
		.amdhsa_float_round_mode_16_64 0
		.amdhsa_float_denorm_mode_32 3
		.amdhsa_float_denorm_mode_16_64 3
		.amdhsa_dx10_clamp 1
		.amdhsa_ieee_mode 1
		.amdhsa_fp16_overflow 0
		.amdhsa_tg_split 0
		.amdhsa_exception_fp_ieee_invalid_op 0
		.amdhsa_exception_fp_denorm_src 0
		.amdhsa_exception_fp_ieee_div_zero 0
		.amdhsa_exception_fp_ieee_overflow 0
		.amdhsa_exception_fp_ieee_underflow 0
		.amdhsa_exception_fp_ieee_inexact 0
		.amdhsa_exception_int_div_zero 0
	.end_amdhsa_kernel
	.section	.text._ZN7rocprim17ROCPRIM_400000_NS6detail17trampoline_kernelINS0_14default_configENS1_20scan_config_selectorIfEEZZNS1_9scan_implILNS1_25lookback_scan_determinismE0ELb1ELb1ES3_N6thrust23THRUST_200600_302600_NS6detail15normal_iteratorINS9_10device_ptrIKfEEEENSB_INSC_IfEEEEfNS9_4plusIvEEfEEDaPvRmT3_T4_T5_mT6_P12ihipStream_tbENKUlT_T0_E_clISt17integral_constantIbLb1EESW_IbLb0EEEEDaSS_ST_EUlSS_E0_NS1_11comp_targetILNS1_3genE3ELNS1_11target_archE908ELNS1_3gpuE7ELNS1_3repE0EEENS1_30default_config_static_selectorELNS0_4arch9wavefront6targetE1EEEvT1_,"axG",@progbits,_ZN7rocprim17ROCPRIM_400000_NS6detail17trampoline_kernelINS0_14default_configENS1_20scan_config_selectorIfEEZZNS1_9scan_implILNS1_25lookback_scan_determinismE0ELb1ELb1ES3_N6thrust23THRUST_200600_302600_NS6detail15normal_iteratorINS9_10device_ptrIKfEEEENSB_INSC_IfEEEEfNS9_4plusIvEEfEEDaPvRmT3_T4_T5_mT6_P12ihipStream_tbENKUlT_T0_E_clISt17integral_constantIbLb1EESW_IbLb0EEEEDaSS_ST_EUlSS_E0_NS1_11comp_targetILNS1_3genE3ELNS1_11target_archE908ELNS1_3gpuE7ELNS1_3repE0EEENS1_30default_config_static_selectorELNS0_4arch9wavefront6targetE1EEEvT1_,comdat
.Lfunc_end60:
	.size	_ZN7rocprim17ROCPRIM_400000_NS6detail17trampoline_kernelINS0_14default_configENS1_20scan_config_selectorIfEEZZNS1_9scan_implILNS1_25lookback_scan_determinismE0ELb1ELb1ES3_N6thrust23THRUST_200600_302600_NS6detail15normal_iteratorINS9_10device_ptrIKfEEEENSB_INSC_IfEEEEfNS9_4plusIvEEfEEDaPvRmT3_T4_T5_mT6_P12ihipStream_tbENKUlT_T0_E_clISt17integral_constantIbLb1EESW_IbLb0EEEEDaSS_ST_EUlSS_E0_NS1_11comp_targetILNS1_3genE3ELNS1_11target_archE908ELNS1_3gpuE7ELNS1_3repE0EEENS1_30default_config_static_selectorELNS0_4arch9wavefront6targetE1EEEvT1_, .Lfunc_end60-_ZN7rocprim17ROCPRIM_400000_NS6detail17trampoline_kernelINS0_14default_configENS1_20scan_config_selectorIfEEZZNS1_9scan_implILNS1_25lookback_scan_determinismE0ELb1ELb1ES3_N6thrust23THRUST_200600_302600_NS6detail15normal_iteratorINS9_10device_ptrIKfEEEENSB_INSC_IfEEEEfNS9_4plusIvEEfEEDaPvRmT3_T4_T5_mT6_P12ihipStream_tbENKUlT_T0_E_clISt17integral_constantIbLb1EESW_IbLb0EEEEDaSS_ST_EUlSS_E0_NS1_11comp_targetILNS1_3genE3ELNS1_11target_archE908ELNS1_3gpuE7ELNS1_3repE0EEENS1_30default_config_static_selectorELNS0_4arch9wavefront6targetE1EEEvT1_
                                        ; -- End function
	.section	.AMDGPU.csdata,"",@progbits
; Kernel info:
; codeLenInByte = 0
; NumSgprs: 6
; NumVgprs: 0
; NumAgprs: 0
; TotalNumVgprs: 0
; ScratchSize: 0
; MemoryBound: 0
; FloatMode: 240
; IeeeMode: 1
; LDSByteSize: 0 bytes/workgroup (compile time only)
; SGPRBlocks: 0
; VGPRBlocks: 0
; NumSGPRsForWavesPerEU: 6
; NumVGPRsForWavesPerEU: 1
; AccumOffset: 4
; Occupancy: 8
; WaveLimiterHint : 0
; COMPUTE_PGM_RSRC2:SCRATCH_EN: 0
; COMPUTE_PGM_RSRC2:USER_SGPR: 2
; COMPUTE_PGM_RSRC2:TRAP_HANDLER: 0
; COMPUTE_PGM_RSRC2:TGID_X_EN: 1
; COMPUTE_PGM_RSRC2:TGID_Y_EN: 0
; COMPUTE_PGM_RSRC2:TGID_Z_EN: 0
; COMPUTE_PGM_RSRC2:TIDIG_COMP_CNT: 0
; COMPUTE_PGM_RSRC3_GFX90A:ACCUM_OFFSET: 0
; COMPUTE_PGM_RSRC3_GFX90A:TG_SPLIT: 0
	.section	.text._ZN7rocprim17ROCPRIM_400000_NS6detail17trampoline_kernelINS0_14default_configENS1_20scan_config_selectorIfEEZZNS1_9scan_implILNS1_25lookback_scan_determinismE0ELb1ELb1ES3_N6thrust23THRUST_200600_302600_NS6detail15normal_iteratorINS9_10device_ptrIKfEEEENSB_INSC_IfEEEEfNS9_4plusIvEEfEEDaPvRmT3_T4_T5_mT6_P12ihipStream_tbENKUlT_T0_E_clISt17integral_constantIbLb1EESW_IbLb0EEEEDaSS_ST_EUlSS_E0_NS1_11comp_targetILNS1_3genE2ELNS1_11target_archE906ELNS1_3gpuE6ELNS1_3repE0EEENS1_30default_config_static_selectorELNS0_4arch9wavefront6targetE1EEEvT1_,"axG",@progbits,_ZN7rocprim17ROCPRIM_400000_NS6detail17trampoline_kernelINS0_14default_configENS1_20scan_config_selectorIfEEZZNS1_9scan_implILNS1_25lookback_scan_determinismE0ELb1ELb1ES3_N6thrust23THRUST_200600_302600_NS6detail15normal_iteratorINS9_10device_ptrIKfEEEENSB_INSC_IfEEEEfNS9_4plusIvEEfEEDaPvRmT3_T4_T5_mT6_P12ihipStream_tbENKUlT_T0_E_clISt17integral_constantIbLb1EESW_IbLb0EEEEDaSS_ST_EUlSS_E0_NS1_11comp_targetILNS1_3genE2ELNS1_11target_archE906ELNS1_3gpuE6ELNS1_3repE0EEENS1_30default_config_static_selectorELNS0_4arch9wavefront6targetE1EEEvT1_,comdat
	.protected	_ZN7rocprim17ROCPRIM_400000_NS6detail17trampoline_kernelINS0_14default_configENS1_20scan_config_selectorIfEEZZNS1_9scan_implILNS1_25lookback_scan_determinismE0ELb1ELb1ES3_N6thrust23THRUST_200600_302600_NS6detail15normal_iteratorINS9_10device_ptrIKfEEEENSB_INSC_IfEEEEfNS9_4plusIvEEfEEDaPvRmT3_T4_T5_mT6_P12ihipStream_tbENKUlT_T0_E_clISt17integral_constantIbLb1EESW_IbLb0EEEEDaSS_ST_EUlSS_E0_NS1_11comp_targetILNS1_3genE2ELNS1_11target_archE906ELNS1_3gpuE6ELNS1_3repE0EEENS1_30default_config_static_selectorELNS0_4arch9wavefront6targetE1EEEvT1_ ; -- Begin function _ZN7rocprim17ROCPRIM_400000_NS6detail17trampoline_kernelINS0_14default_configENS1_20scan_config_selectorIfEEZZNS1_9scan_implILNS1_25lookback_scan_determinismE0ELb1ELb1ES3_N6thrust23THRUST_200600_302600_NS6detail15normal_iteratorINS9_10device_ptrIKfEEEENSB_INSC_IfEEEEfNS9_4plusIvEEfEEDaPvRmT3_T4_T5_mT6_P12ihipStream_tbENKUlT_T0_E_clISt17integral_constantIbLb1EESW_IbLb0EEEEDaSS_ST_EUlSS_E0_NS1_11comp_targetILNS1_3genE2ELNS1_11target_archE906ELNS1_3gpuE6ELNS1_3repE0EEENS1_30default_config_static_selectorELNS0_4arch9wavefront6targetE1EEEvT1_
	.globl	_ZN7rocprim17ROCPRIM_400000_NS6detail17trampoline_kernelINS0_14default_configENS1_20scan_config_selectorIfEEZZNS1_9scan_implILNS1_25lookback_scan_determinismE0ELb1ELb1ES3_N6thrust23THRUST_200600_302600_NS6detail15normal_iteratorINS9_10device_ptrIKfEEEENSB_INSC_IfEEEEfNS9_4plusIvEEfEEDaPvRmT3_T4_T5_mT6_P12ihipStream_tbENKUlT_T0_E_clISt17integral_constantIbLb1EESW_IbLb0EEEEDaSS_ST_EUlSS_E0_NS1_11comp_targetILNS1_3genE2ELNS1_11target_archE906ELNS1_3gpuE6ELNS1_3repE0EEENS1_30default_config_static_selectorELNS0_4arch9wavefront6targetE1EEEvT1_
	.p2align	8
	.type	_ZN7rocprim17ROCPRIM_400000_NS6detail17trampoline_kernelINS0_14default_configENS1_20scan_config_selectorIfEEZZNS1_9scan_implILNS1_25lookback_scan_determinismE0ELb1ELb1ES3_N6thrust23THRUST_200600_302600_NS6detail15normal_iteratorINS9_10device_ptrIKfEEEENSB_INSC_IfEEEEfNS9_4plusIvEEfEEDaPvRmT3_T4_T5_mT6_P12ihipStream_tbENKUlT_T0_E_clISt17integral_constantIbLb1EESW_IbLb0EEEEDaSS_ST_EUlSS_E0_NS1_11comp_targetILNS1_3genE2ELNS1_11target_archE906ELNS1_3gpuE6ELNS1_3repE0EEENS1_30default_config_static_selectorELNS0_4arch9wavefront6targetE1EEEvT1_,@function
_ZN7rocprim17ROCPRIM_400000_NS6detail17trampoline_kernelINS0_14default_configENS1_20scan_config_selectorIfEEZZNS1_9scan_implILNS1_25lookback_scan_determinismE0ELb1ELb1ES3_N6thrust23THRUST_200600_302600_NS6detail15normal_iteratorINS9_10device_ptrIKfEEEENSB_INSC_IfEEEEfNS9_4plusIvEEfEEDaPvRmT3_T4_T5_mT6_P12ihipStream_tbENKUlT_T0_E_clISt17integral_constantIbLb1EESW_IbLb0EEEEDaSS_ST_EUlSS_E0_NS1_11comp_targetILNS1_3genE2ELNS1_11target_archE906ELNS1_3gpuE6ELNS1_3repE0EEENS1_30default_config_static_selectorELNS0_4arch9wavefront6targetE1EEEvT1_: ; @_ZN7rocprim17ROCPRIM_400000_NS6detail17trampoline_kernelINS0_14default_configENS1_20scan_config_selectorIfEEZZNS1_9scan_implILNS1_25lookback_scan_determinismE0ELb1ELb1ES3_N6thrust23THRUST_200600_302600_NS6detail15normal_iteratorINS9_10device_ptrIKfEEEENSB_INSC_IfEEEEfNS9_4plusIvEEfEEDaPvRmT3_T4_T5_mT6_P12ihipStream_tbENKUlT_T0_E_clISt17integral_constantIbLb1EESW_IbLb0EEEEDaSS_ST_EUlSS_E0_NS1_11comp_targetILNS1_3genE2ELNS1_11target_archE906ELNS1_3gpuE6ELNS1_3repE0EEENS1_30default_config_static_selectorELNS0_4arch9wavefront6targetE1EEEvT1_
; %bb.0:
	.section	.rodata,"a",@progbits
	.p2align	6, 0x0
	.amdhsa_kernel _ZN7rocprim17ROCPRIM_400000_NS6detail17trampoline_kernelINS0_14default_configENS1_20scan_config_selectorIfEEZZNS1_9scan_implILNS1_25lookback_scan_determinismE0ELb1ELb1ES3_N6thrust23THRUST_200600_302600_NS6detail15normal_iteratorINS9_10device_ptrIKfEEEENSB_INSC_IfEEEEfNS9_4plusIvEEfEEDaPvRmT3_T4_T5_mT6_P12ihipStream_tbENKUlT_T0_E_clISt17integral_constantIbLb1EESW_IbLb0EEEEDaSS_ST_EUlSS_E0_NS1_11comp_targetILNS1_3genE2ELNS1_11target_archE906ELNS1_3gpuE6ELNS1_3repE0EEENS1_30default_config_static_selectorELNS0_4arch9wavefront6targetE1EEEvT1_
		.amdhsa_group_segment_fixed_size 0
		.amdhsa_private_segment_fixed_size 0
		.amdhsa_kernarg_size 32
		.amdhsa_user_sgpr_count 2
		.amdhsa_user_sgpr_dispatch_ptr 0
		.amdhsa_user_sgpr_queue_ptr 0
		.amdhsa_user_sgpr_kernarg_segment_ptr 1
		.amdhsa_user_sgpr_dispatch_id 0
		.amdhsa_user_sgpr_kernarg_preload_length 0
		.amdhsa_user_sgpr_kernarg_preload_offset 0
		.amdhsa_user_sgpr_private_segment_size 0
		.amdhsa_uses_dynamic_stack 0
		.amdhsa_enable_private_segment 0
		.amdhsa_system_sgpr_workgroup_id_x 1
		.amdhsa_system_sgpr_workgroup_id_y 0
		.amdhsa_system_sgpr_workgroup_id_z 0
		.amdhsa_system_sgpr_workgroup_info 0
		.amdhsa_system_vgpr_workitem_id 0
		.amdhsa_next_free_vgpr 1
		.amdhsa_next_free_sgpr 0
		.amdhsa_accum_offset 4
		.amdhsa_reserve_vcc 0
		.amdhsa_float_round_mode_32 0
		.amdhsa_float_round_mode_16_64 0
		.amdhsa_float_denorm_mode_32 3
		.amdhsa_float_denorm_mode_16_64 3
		.amdhsa_dx10_clamp 1
		.amdhsa_ieee_mode 1
		.amdhsa_fp16_overflow 0
		.amdhsa_tg_split 0
		.amdhsa_exception_fp_ieee_invalid_op 0
		.amdhsa_exception_fp_denorm_src 0
		.amdhsa_exception_fp_ieee_div_zero 0
		.amdhsa_exception_fp_ieee_overflow 0
		.amdhsa_exception_fp_ieee_underflow 0
		.amdhsa_exception_fp_ieee_inexact 0
		.amdhsa_exception_int_div_zero 0
	.end_amdhsa_kernel
	.section	.text._ZN7rocprim17ROCPRIM_400000_NS6detail17trampoline_kernelINS0_14default_configENS1_20scan_config_selectorIfEEZZNS1_9scan_implILNS1_25lookback_scan_determinismE0ELb1ELb1ES3_N6thrust23THRUST_200600_302600_NS6detail15normal_iteratorINS9_10device_ptrIKfEEEENSB_INSC_IfEEEEfNS9_4plusIvEEfEEDaPvRmT3_T4_T5_mT6_P12ihipStream_tbENKUlT_T0_E_clISt17integral_constantIbLb1EESW_IbLb0EEEEDaSS_ST_EUlSS_E0_NS1_11comp_targetILNS1_3genE2ELNS1_11target_archE906ELNS1_3gpuE6ELNS1_3repE0EEENS1_30default_config_static_selectorELNS0_4arch9wavefront6targetE1EEEvT1_,"axG",@progbits,_ZN7rocprim17ROCPRIM_400000_NS6detail17trampoline_kernelINS0_14default_configENS1_20scan_config_selectorIfEEZZNS1_9scan_implILNS1_25lookback_scan_determinismE0ELb1ELb1ES3_N6thrust23THRUST_200600_302600_NS6detail15normal_iteratorINS9_10device_ptrIKfEEEENSB_INSC_IfEEEEfNS9_4plusIvEEfEEDaPvRmT3_T4_T5_mT6_P12ihipStream_tbENKUlT_T0_E_clISt17integral_constantIbLb1EESW_IbLb0EEEEDaSS_ST_EUlSS_E0_NS1_11comp_targetILNS1_3genE2ELNS1_11target_archE906ELNS1_3gpuE6ELNS1_3repE0EEENS1_30default_config_static_selectorELNS0_4arch9wavefront6targetE1EEEvT1_,comdat
.Lfunc_end61:
	.size	_ZN7rocprim17ROCPRIM_400000_NS6detail17trampoline_kernelINS0_14default_configENS1_20scan_config_selectorIfEEZZNS1_9scan_implILNS1_25lookback_scan_determinismE0ELb1ELb1ES3_N6thrust23THRUST_200600_302600_NS6detail15normal_iteratorINS9_10device_ptrIKfEEEENSB_INSC_IfEEEEfNS9_4plusIvEEfEEDaPvRmT3_T4_T5_mT6_P12ihipStream_tbENKUlT_T0_E_clISt17integral_constantIbLb1EESW_IbLb0EEEEDaSS_ST_EUlSS_E0_NS1_11comp_targetILNS1_3genE2ELNS1_11target_archE906ELNS1_3gpuE6ELNS1_3repE0EEENS1_30default_config_static_selectorELNS0_4arch9wavefront6targetE1EEEvT1_, .Lfunc_end61-_ZN7rocprim17ROCPRIM_400000_NS6detail17trampoline_kernelINS0_14default_configENS1_20scan_config_selectorIfEEZZNS1_9scan_implILNS1_25lookback_scan_determinismE0ELb1ELb1ES3_N6thrust23THRUST_200600_302600_NS6detail15normal_iteratorINS9_10device_ptrIKfEEEENSB_INSC_IfEEEEfNS9_4plusIvEEfEEDaPvRmT3_T4_T5_mT6_P12ihipStream_tbENKUlT_T0_E_clISt17integral_constantIbLb1EESW_IbLb0EEEEDaSS_ST_EUlSS_E0_NS1_11comp_targetILNS1_3genE2ELNS1_11target_archE906ELNS1_3gpuE6ELNS1_3repE0EEENS1_30default_config_static_selectorELNS0_4arch9wavefront6targetE1EEEvT1_
                                        ; -- End function
	.section	.AMDGPU.csdata,"",@progbits
; Kernel info:
; codeLenInByte = 0
; NumSgprs: 6
; NumVgprs: 0
; NumAgprs: 0
; TotalNumVgprs: 0
; ScratchSize: 0
; MemoryBound: 0
; FloatMode: 240
; IeeeMode: 1
; LDSByteSize: 0 bytes/workgroup (compile time only)
; SGPRBlocks: 0
; VGPRBlocks: 0
; NumSGPRsForWavesPerEU: 6
; NumVGPRsForWavesPerEU: 1
; AccumOffset: 4
; Occupancy: 8
; WaveLimiterHint : 0
; COMPUTE_PGM_RSRC2:SCRATCH_EN: 0
; COMPUTE_PGM_RSRC2:USER_SGPR: 2
; COMPUTE_PGM_RSRC2:TRAP_HANDLER: 0
; COMPUTE_PGM_RSRC2:TGID_X_EN: 1
; COMPUTE_PGM_RSRC2:TGID_Y_EN: 0
; COMPUTE_PGM_RSRC2:TGID_Z_EN: 0
; COMPUTE_PGM_RSRC2:TIDIG_COMP_CNT: 0
; COMPUTE_PGM_RSRC3_GFX90A:ACCUM_OFFSET: 0
; COMPUTE_PGM_RSRC3_GFX90A:TG_SPLIT: 0
	.section	.text._ZN7rocprim17ROCPRIM_400000_NS6detail17trampoline_kernelINS0_14default_configENS1_20scan_config_selectorIfEEZZNS1_9scan_implILNS1_25lookback_scan_determinismE0ELb1ELb1ES3_N6thrust23THRUST_200600_302600_NS6detail15normal_iteratorINS9_10device_ptrIKfEEEENSB_INSC_IfEEEEfNS9_4plusIvEEfEEDaPvRmT3_T4_T5_mT6_P12ihipStream_tbENKUlT_T0_E_clISt17integral_constantIbLb1EESW_IbLb0EEEEDaSS_ST_EUlSS_E0_NS1_11comp_targetILNS1_3genE10ELNS1_11target_archE1201ELNS1_3gpuE5ELNS1_3repE0EEENS1_30default_config_static_selectorELNS0_4arch9wavefront6targetE1EEEvT1_,"axG",@progbits,_ZN7rocprim17ROCPRIM_400000_NS6detail17trampoline_kernelINS0_14default_configENS1_20scan_config_selectorIfEEZZNS1_9scan_implILNS1_25lookback_scan_determinismE0ELb1ELb1ES3_N6thrust23THRUST_200600_302600_NS6detail15normal_iteratorINS9_10device_ptrIKfEEEENSB_INSC_IfEEEEfNS9_4plusIvEEfEEDaPvRmT3_T4_T5_mT6_P12ihipStream_tbENKUlT_T0_E_clISt17integral_constantIbLb1EESW_IbLb0EEEEDaSS_ST_EUlSS_E0_NS1_11comp_targetILNS1_3genE10ELNS1_11target_archE1201ELNS1_3gpuE5ELNS1_3repE0EEENS1_30default_config_static_selectorELNS0_4arch9wavefront6targetE1EEEvT1_,comdat
	.protected	_ZN7rocprim17ROCPRIM_400000_NS6detail17trampoline_kernelINS0_14default_configENS1_20scan_config_selectorIfEEZZNS1_9scan_implILNS1_25lookback_scan_determinismE0ELb1ELb1ES3_N6thrust23THRUST_200600_302600_NS6detail15normal_iteratorINS9_10device_ptrIKfEEEENSB_INSC_IfEEEEfNS9_4plusIvEEfEEDaPvRmT3_T4_T5_mT6_P12ihipStream_tbENKUlT_T0_E_clISt17integral_constantIbLb1EESW_IbLb0EEEEDaSS_ST_EUlSS_E0_NS1_11comp_targetILNS1_3genE10ELNS1_11target_archE1201ELNS1_3gpuE5ELNS1_3repE0EEENS1_30default_config_static_selectorELNS0_4arch9wavefront6targetE1EEEvT1_ ; -- Begin function _ZN7rocprim17ROCPRIM_400000_NS6detail17trampoline_kernelINS0_14default_configENS1_20scan_config_selectorIfEEZZNS1_9scan_implILNS1_25lookback_scan_determinismE0ELb1ELb1ES3_N6thrust23THRUST_200600_302600_NS6detail15normal_iteratorINS9_10device_ptrIKfEEEENSB_INSC_IfEEEEfNS9_4plusIvEEfEEDaPvRmT3_T4_T5_mT6_P12ihipStream_tbENKUlT_T0_E_clISt17integral_constantIbLb1EESW_IbLb0EEEEDaSS_ST_EUlSS_E0_NS1_11comp_targetILNS1_3genE10ELNS1_11target_archE1201ELNS1_3gpuE5ELNS1_3repE0EEENS1_30default_config_static_selectorELNS0_4arch9wavefront6targetE1EEEvT1_
	.globl	_ZN7rocprim17ROCPRIM_400000_NS6detail17trampoline_kernelINS0_14default_configENS1_20scan_config_selectorIfEEZZNS1_9scan_implILNS1_25lookback_scan_determinismE0ELb1ELb1ES3_N6thrust23THRUST_200600_302600_NS6detail15normal_iteratorINS9_10device_ptrIKfEEEENSB_INSC_IfEEEEfNS9_4plusIvEEfEEDaPvRmT3_T4_T5_mT6_P12ihipStream_tbENKUlT_T0_E_clISt17integral_constantIbLb1EESW_IbLb0EEEEDaSS_ST_EUlSS_E0_NS1_11comp_targetILNS1_3genE10ELNS1_11target_archE1201ELNS1_3gpuE5ELNS1_3repE0EEENS1_30default_config_static_selectorELNS0_4arch9wavefront6targetE1EEEvT1_
	.p2align	8
	.type	_ZN7rocprim17ROCPRIM_400000_NS6detail17trampoline_kernelINS0_14default_configENS1_20scan_config_selectorIfEEZZNS1_9scan_implILNS1_25lookback_scan_determinismE0ELb1ELb1ES3_N6thrust23THRUST_200600_302600_NS6detail15normal_iteratorINS9_10device_ptrIKfEEEENSB_INSC_IfEEEEfNS9_4plusIvEEfEEDaPvRmT3_T4_T5_mT6_P12ihipStream_tbENKUlT_T0_E_clISt17integral_constantIbLb1EESW_IbLb0EEEEDaSS_ST_EUlSS_E0_NS1_11comp_targetILNS1_3genE10ELNS1_11target_archE1201ELNS1_3gpuE5ELNS1_3repE0EEENS1_30default_config_static_selectorELNS0_4arch9wavefront6targetE1EEEvT1_,@function
_ZN7rocprim17ROCPRIM_400000_NS6detail17trampoline_kernelINS0_14default_configENS1_20scan_config_selectorIfEEZZNS1_9scan_implILNS1_25lookback_scan_determinismE0ELb1ELb1ES3_N6thrust23THRUST_200600_302600_NS6detail15normal_iteratorINS9_10device_ptrIKfEEEENSB_INSC_IfEEEEfNS9_4plusIvEEfEEDaPvRmT3_T4_T5_mT6_P12ihipStream_tbENKUlT_T0_E_clISt17integral_constantIbLb1EESW_IbLb0EEEEDaSS_ST_EUlSS_E0_NS1_11comp_targetILNS1_3genE10ELNS1_11target_archE1201ELNS1_3gpuE5ELNS1_3repE0EEENS1_30default_config_static_selectorELNS0_4arch9wavefront6targetE1EEEvT1_: ; @_ZN7rocprim17ROCPRIM_400000_NS6detail17trampoline_kernelINS0_14default_configENS1_20scan_config_selectorIfEEZZNS1_9scan_implILNS1_25lookback_scan_determinismE0ELb1ELb1ES3_N6thrust23THRUST_200600_302600_NS6detail15normal_iteratorINS9_10device_ptrIKfEEEENSB_INSC_IfEEEEfNS9_4plusIvEEfEEDaPvRmT3_T4_T5_mT6_P12ihipStream_tbENKUlT_T0_E_clISt17integral_constantIbLb1EESW_IbLb0EEEEDaSS_ST_EUlSS_E0_NS1_11comp_targetILNS1_3genE10ELNS1_11target_archE1201ELNS1_3gpuE5ELNS1_3repE0EEENS1_30default_config_static_selectorELNS0_4arch9wavefront6targetE1EEEvT1_
; %bb.0:
	.section	.rodata,"a",@progbits
	.p2align	6, 0x0
	.amdhsa_kernel _ZN7rocprim17ROCPRIM_400000_NS6detail17trampoline_kernelINS0_14default_configENS1_20scan_config_selectorIfEEZZNS1_9scan_implILNS1_25lookback_scan_determinismE0ELb1ELb1ES3_N6thrust23THRUST_200600_302600_NS6detail15normal_iteratorINS9_10device_ptrIKfEEEENSB_INSC_IfEEEEfNS9_4plusIvEEfEEDaPvRmT3_T4_T5_mT6_P12ihipStream_tbENKUlT_T0_E_clISt17integral_constantIbLb1EESW_IbLb0EEEEDaSS_ST_EUlSS_E0_NS1_11comp_targetILNS1_3genE10ELNS1_11target_archE1201ELNS1_3gpuE5ELNS1_3repE0EEENS1_30default_config_static_selectorELNS0_4arch9wavefront6targetE1EEEvT1_
		.amdhsa_group_segment_fixed_size 0
		.amdhsa_private_segment_fixed_size 0
		.amdhsa_kernarg_size 32
		.amdhsa_user_sgpr_count 2
		.amdhsa_user_sgpr_dispatch_ptr 0
		.amdhsa_user_sgpr_queue_ptr 0
		.amdhsa_user_sgpr_kernarg_segment_ptr 1
		.amdhsa_user_sgpr_dispatch_id 0
		.amdhsa_user_sgpr_kernarg_preload_length 0
		.amdhsa_user_sgpr_kernarg_preload_offset 0
		.amdhsa_user_sgpr_private_segment_size 0
		.amdhsa_uses_dynamic_stack 0
		.amdhsa_enable_private_segment 0
		.amdhsa_system_sgpr_workgroup_id_x 1
		.amdhsa_system_sgpr_workgroup_id_y 0
		.amdhsa_system_sgpr_workgroup_id_z 0
		.amdhsa_system_sgpr_workgroup_info 0
		.amdhsa_system_vgpr_workitem_id 0
		.amdhsa_next_free_vgpr 1
		.amdhsa_next_free_sgpr 0
		.amdhsa_accum_offset 4
		.amdhsa_reserve_vcc 0
		.amdhsa_float_round_mode_32 0
		.amdhsa_float_round_mode_16_64 0
		.amdhsa_float_denorm_mode_32 3
		.amdhsa_float_denorm_mode_16_64 3
		.amdhsa_dx10_clamp 1
		.amdhsa_ieee_mode 1
		.amdhsa_fp16_overflow 0
		.amdhsa_tg_split 0
		.amdhsa_exception_fp_ieee_invalid_op 0
		.amdhsa_exception_fp_denorm_src 0
		.amdhsa_exception_fp_ieee_div_zero 0
		.amdhsa_exception_fp_ieee_overflow 0
		.amdhsa_exception_fp_ieee_underflow 0
		.amdhsa_exception_fp_ieee_inexact 0
		.amdhsa_exception_int_div_zero 0
	.end_amdhsa_kernel
	.section	.text._ZN7rocprim17ROCPRIM_400000_NS6detail17trampoline_kernelINS0_14default_configENS1_20scan_config_selectorIfEEZZNS1_9scan_implILNS1_25lookback_scan_determinismE0ELb1ELb1ES3_N6thrust23THRUST_200600_302600_NS6detail15normal_iteratorINS9_10device_ptrIKfEEEENSB_INSC_IfEEEEfNS9_4plusIvEEfEEDaPvRmT3_T4_T5_mT6_P12ihipStream_tbENKUlT_T0_E_clISt17integral_constantIbLb1EESW_IbLb0EEEEDaSS_ST_EUlSS_E0_NS1_11comp_targetILNS1_3genE10ELNS1_11target_archE1201ELNS1_3gpuE5ELNS1_3repE0EEENS1_30default_config_static_selectorELNS0_4arch9wavefront6targetE1EEEvT1_,"axG",@progbits,_ZN7rocprim17ROCPRIM_400000_NS6detail17trampoline_kernelINS0_14default_configENS1_20scan_config_selectorIfEEZZNS1_9scan_implILNS1_25lookback_scan_determinismE0ELb1ELb1ES3_N6thrust23THRUST_200600_302600_NS6detail15normal_iteratorINS9_10device_ptrIKfEEEENSB_INSC_IfEEEEfNS9_4plusIvEEfEEDaPvRmT3_T4_T5_mT6_P12ihipStream_tbENKUlT_T0_E_clISt17integral_constantIbLb1EESW_IbLb0EEEEDaSS_ST_EUlSS_E0_NS1_11comp_targetILNS1_3genE10ELNS1_11target_archE1201ELNS1_3gpuE5ELNS1_3repE0EEENS1_30default_config_static_selectorELNS0_4arch9wavefront6targetE1EEEvT1_,comdat
.Lfunc_end62:
	.size	_ZN7rocprim17ROCPRIM_400000_NS6detail17trampoline_kernelINS0_14default_configENS1_20scan_config_selectorIfEEZZNS1_9scan_implILNS1_25lookback_scan_determinismE0ELb1ELb1ES3_N6thrust23THRUST_200600_302600_NS6detail15normal_iteratorINS9_10device_ptrIKfEEEENSB_INSC_IfEEEEfNS9_4plusIvEEfEEDaPvRmT3_T4_T5_mT6_P12ihipStream_tbENKUlT_T0_E_clISt17integral_constantIbLb1EESW_IbLb0EEEEDaSS_ST_EUlSS_E0_NS1_11comp_targetILNS1_3genE10ELNS1_11target_archE1201ELNS1_3gpuE5ELNS1_3repE0EEENS1_30default_config_static_selectorELNS0_4arch9wavefront6targetE1EEEvT1_, .Lfunc_end62-_ZN7rocprim17ROCPRIM_400000_NS6detail17trampoline_kernelINS0_14default_configENS1_20scan_config_selectorIfEEZZNS1_9scan_implILNS1_25lookback_scan_determinismE0ELb1ELb1ES3_N6thrust23THRUST_200600_302600_NS6detail15normal_iteratorINS9_10device_ptrIKfEEEENSB_INSC_IfEEEEfNS9_4plusIvEEfEEDaPvRmT3_T4_T5_mT6_P12ihipStream_tbENKUlT_T0_E_clISt17integral_constantIbLb1EESW_IbLb0EEEEDaSS_ST_EUlSS_E0_NS1_11comp_targetILNS1_3genE10ELNS1_11target_archE1201ELNS1_3gpuE5ELNS1_3repE0EEENS1_30default_config_static_selectorELNS0_4arch9wavefront6targetE1EEEvT1_
                                        ; -- End function
	.section	.AMDGPU.csdata,"",@progbits
; Kernel info:
; codeLenInByte = 0
; NumSgprs: 6
; NumVgprs: 0
; NumAgprs: 0
; TotalNumVgprs: 0
; ScratchSize: 0
; MemoryBound: 0
; FloatMode: 240
; IeeeMode: 1
; LDSByteSize: 0 bytes/workgroup (compile time only)
; SGPRBlocks: 0
; VGPRBlocks: 0
; NumSGPRsForWavesPerEU: 6
; NumVGPRsForWavesPerEU: 1
; AccumOffset: 4
; Occupancy: 8
; WaveLimiterHint : 0
; COMPUTE_PGM_RSRC2:SCRATCH_EN: 0
; COMPUTE_PGM_RSRC2:USER_SGPR: 2
; COMPUTE_PGM_RSRC2:TRAP_HANDLER: 0
; COMPUTE_PGM_RSRC2:TGID_X_EN: 1
; COMPUTE_PGM_RSRC2:TGID_Y_EN: 0
; COMPUTE_PGM_RSRC2:TGID_Z_EN: 0
; COMPUTE_PGM_RSRC2:TIDIG_COMP_CNT: 0
; COMPUTE_PGM_RSRC3_GFX90A:ACCUM_OFFSET: 0
; COMPUTE_PGM_RSRC3_GFX90A:TG_SPLIT: 0
	.section	.text._ZN7rocprim17ROCPRIM_400000_NS6detail17trampoline_kernelINS0_14default_configENS1_20scan_config_selectorIfEEZZNS1_9scan_implILNS1_25lookback_scan_determinismE0ELb1ELb1ES3_N6thrust23THRUST_200600_302600_NS6detail15normal_iteratorINS9_10device_ptrIKfEEEENSB_INSC_IfEEEEfNS9_4plusIvEEfEEDaPvRmT3_T4_T5_mT6_P12ihipStream_tbENKUlT_T0_E_clISt17integral_constantIbLb1EESW_IbLb0EEEEDaSS_ST_EUlSS_E0_NS1_11comp_targetILNS1_3genE10ELNS1_11target_archE1200ELNS1_3gpuE4ELNS1_3repE0EEENS1_30default_config_static_selectorELNS0_4arch9wavefront6targetE1EEEvT1_,"axG",@progbits,_ZN7rocprim17ROCPRIM_400000_NS6detail17trampoline_kernelINS0_14default_configENS1_20scan_config_selectorIfEEZZNS1_9scan_implILNS1_25lookback_scan_determinismE0ELb1ELb1ES3_N6thrust23THRUST_200600_302600_NS6detail15normal_iteratorINS9_10device_ptrIKfEEEENSB_INSC_IfEEEEfNS9_4plusIvEEfEEDaPvRmT3_T4_T5_mT6_P12ihipStream_tbENKUlT_T0_E_clISt17integral_constantIbLb1EESW_IbLb0EEEEDaSS_ST_EUlSS_E0_NS1_11comp_targetILNS1_3genE10ELNS1_11target_archE1200ELNS1_3gpuE4ELNS1_3repE0EEENS1_30default_config_static_selectorELNS0_4arch9wavefront6targetE1EEEvT1_,comdat
	.protected	_ZN7rocprim17ROCPRIM_400000_NS6detail17trampoline_kernelINS0_14default_configENS1_20scan_config_selectorIfEEZZNS1_9scan_implILNS1_25lookback_scan_determinismE0ELb1ELb1ES3_N6thrust23THRUST_200600_302600_NS6detail15normal_iteratorINS9_10device_ptrIKfEEEENSB_INSC_IfEEEEfNS9_4plusIvEEfEEDaPvRmT3_T4_T5_mT6_P12ihipStream_tbENKUlT_T0_E_clISt17integral_constantIbLb1EESW_IbLb0EEEEDaSS_ST_EUlSS_E0_NS1_11comp_targetILNS1_3genE10ELNS1_11target_archE1200ELNS1_3gpuE4ELNS1_3repE0EEENS1_30default_config_static_selectorELNS0_4arch9wavefront6targetE1EEEvT1_ ; -- Begin function _ZN7rocprim17ROCPRIM_400000_NS6detail17trampoline_kernelINS0_14default_configENS1_20scan_config_selectorIfEEZZNS1_9scan_implILNS1_25lookback_scan_determinismE0ELb1ELb1ES3_N6thrust23THRUST_200600_302600_NS6detail15normal_iteratorINS9_10device_ptrIKfEEEENSB_INSC_IfEEEEfNS9_4plusIvEEfEEDaPvRmT3_T4_T5_mT6_P12ihipStream_tbENKUlT_T0_E_clISt17integral_constantIbLb1EESW_IbLb0EEEEDaSS_ST_EUlSS_E0_NS1_11comp_targetILNS1_3genE10ELNS1_11target_archE1200ELNS1_3gpuE4ELNS1_3repE0EEENS1_30default_config_static_selectorELNS0_4arch9wavefront6targetE1EEEvT1_
	.globl	_ZN7rocprim17ROCPRIM_400000_NS6detail17trampoline_kernelINS0_14default_configENS1_20scan_config_selectorIfEEZZNS1_9scan_implILNS1_25lookback_scan_determinismE0ELb1ELb1ES3_N6thrust23THRUST_200600_302600_NS6detail15normal_iteratorINS9_10device_ptrIKfEEEENSB_INSC_IfEEEEfNS9_4plusIvEEfEEDaPvRmT3_T4_T5_mT6_P12ihipStream_tbENKUlT_T0_E_clISt17integral_constantIbLb1EESW_IbLb0EEEEDaSS_ST_EUlSS_E0_NS1_11comp_targetILNS1_3genE10ELNS1_11target_archE1200ELNS1_3gpuE4ELNS1_3repE0EEENS1_30default_config_static_selectorELNS0_4arch9wavefront6targetE1EEEvT1_
	.p2align	8
	.type	_ZN7rocprim17ROCPRIM_400000_NS6detail17trampoline_kernelINS0_14default_configENS1_20scan_config_selectorIfEEZZNS1_9scan_implILNS1_25lookback_scan_determinismE0ELb1ELb1ES3_N6thrust23THRUST_200600_302600_NS6detail15normal_iteratorINS9_10device_ptrIKfEEEENSB_INSC_IfEEEEfNS9_4plusIvEEfEEDaPvRmT3_T4_T5_mT6_P12ihipStream_tbENKUlT_T0_E_clISt17integral_constantIbLb1EESW_IbLb0EEEEDaSS_ST_EUlSS_E0_NS1_11comp_targetILNS1_3genE10ELNS1_11target_archE1200ELNS1_3gpuE4ELNS1_3repE0EEENS1_30default_config_static_selectorELNS0_4arch9wavefront6targetE1EEEvT1_,@function
_ZN7rocprim17ROCPRIM_400000_NS6detail17trampoline_kernelINS0_14default_configENS1_20scan_config_selectorIfEEZZNS1_9scan_implILNS1_25lookback_scan_determinismE0ELb1ELb1ES3_N6thrust23THRUST_200600_302600_NS6detail15normal_iteratorINS9_10device_ptrIKfEEEENSB_INSC_IfEEEEfNS9_4plusIvEEfEEDaPvRmT3_T4_T5_mT6_P12ihipStream_tbENKUlT_T0_E_clISt17integral_constantIbLb1EESW_IbLb0EEEEDaSS_ST_EUlSS_E0_NS1_11comp_targetILNS1_3genE10ELNS1_11target_archE1200ELNS1_3gpuE4ELNS1_3repE0EEENS1_30default_config_static_selectorELNS0_4arch9wavefront6targetE1EEEvT1_: ; @_ZN7rocprim17ROCPRIM_400000_NS6detail17trampoline_kernelINS0_14default_configENS1_20scan_config_selectorIfEEZZNS1_9scan_implILNS1_25lookback_scan_determinismE0ELb1ELb1ES3_N6thrust23THRUST_200600_302600_NS6detail15normal_iteratorINS9_10device_ptrIKfEEEENSB_INSC_IfEEEEfNS9_4plusIvEEfEEDaPvRmT3_T4_T5_mT6_P12ihipStream_tbENKUlT_T0_E_clISt17integral_constantIbLb1EESW_IbLb0EEEEDaSS_ST_EUlSS_E0_NS1_11comp_targetILNS1_3genE10ELNS1_11target_archE1200ELNS1_3gpuE4ELNS1_3repE0EEENS1_30default_config_static_selectorELNS0_4arch9wavefront6targetE1EEEvT1_
; %bb.0:
	.section	.rodata,"a",@progbits
	.p2align	6, 0x0
	.amdhsa_kernel _ZN7rocprim17ROCPRIM_400000_NS6detail17trampoline_kernelINS0_14default_configENS1_20scan_config_selectorIfEEZZNS1_9scan_implILNS1_25lookback_scan_determinismE0ELb1ELb1ES3_N6thrust23THRUST_200600_302600_NS6detail15normal_iteratorINS9_10device_ptrIKfEEEENSB_INSC_IfEEEEfNS9_4plusIvEEfEEDaPvRmT3_T4_T5_mT6_P12ihipStream_tbENKUlT_T0_E_clISt17integral_constantIbLb1EESW_IbLb0EEEEDaSS_ST_EUlSS_E0_NS1_11comp_targetILNS1_3genE10ELNS1_11target_archE1200ELNS1_3gpuE4ELNS1_3repE0EEENS1_30default_config_static_selectorELNS0_4arch9wavefront6targetE1EEEvT1_
		.amdhsa_group_segment_fixed_size 0
		.amdhsa_private_segment_fixed_size 0
		.amdhsa_kernarg_size 32
		.amdhsa_user_sgpr_count 2
		.amdhsa_user_sgpr_dispatch_ptr 0
		.amdhsa_user_sgpr_queue_ptr 0
		.amdhsa_user_sgpr_kernarg_segment_ptr 1
		.amdhsa_user_sgpr_dispatch_id 0
		.amdhsa_user_sgpr_kernarg_preload_length 0
		.amdhsa_user_sgpr_kernarg_preload_offset 0
		.amdhsa_user_sgpr_private_segment_size 0
		.amdhsa_uses_dynamic_stack 0
		.amdhsa_enable_private_segment 0
		.amdhsa_system_sgpr_workgroup_id_x 1
		.amdhsa_system_sgpr_workgroup_id_y 0
		.amdhsa_system_sgpr_workgroup_id_z 0
		.amdhsa_system_sgpr_workgroup_info 0
		.amdhsa_system_vgpr_workitem_id 0
		.amdhsa_next_free_vgpr 1
		.amdhsa_next_free_sgpr 0
		.amdhsa_accum_offset 4
		.amdhsa_reserve_vcc 0
		.amdhsa_float_round_mode_32 0
		.amdhsa_float_round_mode_16_64 0
		.amdhsa_float_denorm_mode_32 3
		.amdhsa_float_denorm_mode_16_64 3
		.amdhsa_dx10_clamp 1
		.amdhsa_ieee_mode 1
		.amdhsa_fp16_overflow 0
		.amdhsa_tg_split 0
		.amdhsa_exception_fp_ieee_invalid_op 0
		.amdhsa_exception_fp_denorm_src 0
		.amdhsa_exception_fp_ieee_div_zero 0
		.amdhsa_exception_fp_ieee_overflow 0
		.amdhsa_exception_fp_ieee_underflow 0
		.amdhsa_exception_fp_ieee_inexact 0
		.amdhsa_exception_int_div_zero 0
	.end_amdhsa_kernel
	.section	.text._ZN7rocprim17ROCPRIM_400000_NS6detail17trampoline_kernelINS0_14default_configENS1_20scan_config_selectorIfEEZZNS1_9scan_implILNS1_25lookback_scan_determinismE0ELb1ELb1ES3_N6thrust23THRUST_200600_302600_NS6detail15normal_iteratorINS9_10device_ptrIKfEEEENSB_INSC_IfEEEEfNS9_4plusIvEEfEEDaPvRmT3_T4_T5_mT6_P12ihipStream_tbENKUlT_T0_E_clISt17integral_constantIbLb1EESW_IbLb0EEEEDaSS_ST_EUlSS_E0_NS1_11comp_targetILNS1_3genE10ELNS1_11target_archE1200ELNS1_3gpuE4ELNS1_3repE0EEENS1_30default_config_static_selectorELNS0_4arch9wavefront6targetE1EEEvT1_,"axG",@progbits,_ZN7rocprim17ROCPRIM_400000_NS6detail17trampoline_kernelINS0_14default_configENS1_20scan_config_selectorIfEEZZNS1_9scan_implILNS1_25lookback_scan_determinismE0ELb1ELb1ES3_N6thrust23THRUST_200600_302600_NS6detail15normal_iteratorINS9_10device_ptrIKfEEEENSB_INSC_IfEEEEfNS9_4plusIvEEfEEDaPvRmT3_T4_T5_mT6_P12ihipStream_tbENKUlT_T0_E_clISt17integral_constantIbLb1EESW_IbLb0EEEEDaSS_ST_EUlSS_E0_NS1_11comp_targetILNS1_3genE10ELNS1_11target_archE1200ELNS1_3gpuE4ELNS1_3repE0EEENS1_30default_config_static_selectorELNS0_4arch9wavefront6targetE1EEEvT1_,comdat
.Lfunc_end63:
	.size	_ZN7rocprim17ROCPRIM_400000_NS6detail17trampoline_kernelINS0_14default_configENS1_20scan_config_selectorIfEEZZNS1_9scan_implILNS1_25lookback_scan_determinismE0ELb1ELb1ES3_N6thrust23THRUST_200600_302600_NS6detail15normal_iteratorINS9_10device_ptrIKfEEEENSB_INSC_IfEEEEfNS9_4plusIvEEfEEDaPvRmT3_T4_T5_mT6_P12ihipStream_tbENKUlT_T0_E_clISt17integral_constantIbLb1EESW_IbLb0EEEEDaSS_ST_EUlSS_E0_NS1_11comp_targetILNS1_3genE10ELNS1_11target_archE1200ELNS1_3gpuE4ELNS1_3repE0EEENS1_30default_config_static_selectorELNS0_4arch9wavefront6targetE1EEEvT1_, .Lfunc_end63-_ZN7rocprim17ROCPRIM_400000_NS6detail17trampoline_kernelINS0_14default_configENS1_20scan_config_selectorIfEEZZNS1_9scan_implILNS1_25lookback_scan_determinismE0ELb1ELb1ES3_N6thrust23THRUST_200600_302600_NS6detail15normal_iteratorINS9_10device_ptrIKfEEEENSB_INSC_IfEEEEfNS9_4plusIvEEfEEDaPvRmT3_T4_T5_mT6_P12ihipStream_tbENKUlT_T0_E_clISt17integral_constantIbLb1EESW_IbLb0EEEEDaSS_ST_EUlSS_E0_NS1_11comp_targetILNS1_3genE10ELNS1_11target_archE1200ELNS1_3gpuE4ELNS1_3repE0EEENS1_30default_config_static_selectorELNS0_4arch9wavefront6targetE1EEEvT1_
                                        ; -- End function
	.section	.AMDGPU.csdata,"",@progbits
; Kernel info:
; codeLenInByte = 0
; NumSgprs: 6
; NumVgprs: 0
; NumAgprs: 0
; TotalNumVgprs: 0
; ScratchSize: 0
; MemoryBound: 0
; FloatMode: 240
; IeeeMode: 1
; LDSByteSize: 0 bytes/workgroup (compile time only)
; SGPRBlocks: 0
; VGPRBlocks: 0
; NumSGPRsForWavesPerEU: 6
; NumVGPRsForWavesPerEU: 1
; AccumOffset: 4
; Occupancy: 8
; WaveLimiterHint : 0
; COMPUTE_PGM_RSRC2:SCRATCH_EN: 0
; COMPUTE_PGM_RSRC2:USER_SGPR: 2
; COMPUTE_PGM_RSRC2:TRAP_HANDLER: 0
; COMPUTE_PGM_RSRC2:TGID_X_EN: 1
; COMPUTE_PGM_RSRC2:TGID_Y_EN: 0
; COMPUTE_PGM_RSRC2:TGID_Z_EN: 0
; COMPUTE_PGM_RSRC2:TIDIG_COMP_CNT: 0
; COMPUTE_PGM_RSRC3_GFX90A:ACCUM_OFFSET: 0
; COMPUTE_PGM_RSRC3_GFX90A:TG_SPLIT: 0
	.section	.text._ZN7rocprim17ROCPRIM_400000_NS6detail17trampoline_kernelINS0_14default_configENS1_20scan_config_selectorIfEEZZNS1_9scan_implILNS1_25lookback_scan_determinismE0ELb1ELb1ES3_N6thrust23THRUST_200600_302600_NS6detail15normal_iteratorINS9_10device_ptrIKfEEEENSB_INSC_IfEEEEfNS9_4plusIvEEfEEDaPvRmT3_T4_T5_mT6_P12ihipStream_tbENKUlT_T0_E_clISt17integral_constantIbLb1EESW_IbLb0EEEEDaSS_ST_EUlSS_E0_NS1_11comp_targetILNS1_3genE9ELNS1_11target_archE1100ELNS1_3gpuE3ELNS1_3repE0EEENS1_30default_config_static_selectorELNS0_4arch9wavefront6targetE1EEEvT1_,"axG",@progbits,_ZN7rocprim17ROCPRIM_400000_NS6detail17trampoline_kernelINS0_14default_configENS1_20scan_config_selectorIfEEZZNS1_9scan_implILNS1_25lookback_scan_determinismE0ELb1ELb1ES3_N6thrust23THRUST_200600_302600_NS6detail15normal_iteratorINS9_10device_ptrIKfEEEENSB_INSC_IfEEEEfNS9_4plusIvEEfEEDaPvRmT3_T4_T5_mT6_P12ihipStream_tbENKUlT_T0_E_clISt17integral_constantIbLb1EESW_IbLb0EEEEDaSS_ST_EUlSS_E0_NS1_11comp_targetILNS1_3genE9ELNS1_11target_archE1100ELNS1_3gpuE3ELNS1_3repE0EEENS1_30default_config_static_selectorELNS0_4arch9wavefront6targetE1EEEvT1_,comdat
	.protected	_ZN7rocprim17ROCPRIM_400000_NS6detail17trampoline_kernelINS0_14default_configENS1_20scan_config_selectorIfEEZZNS1_9scan_implILNS1_25lookback_scan_determinismE0ELb1ELb1ES3_N6thrust23THRUST_200600_302600_NS6detail15normal_iteratorINS9_10device_ptrIKfEEEENSB_INSC_IfEEEEfNS9_4plusIvEEfEEDaPvRmT3_T4_T5_mT6_P12ihipStream_tbENKUlT_T0_E_clISt17integral_constantIbLb1EESW_IbLb0EEEEDaSS_ST_EUlSS_E0_NS1_11comp_targetILNS1_3genE9ELNS1_11target_archE1100ELNS1_3gpuE3ELNS1_3repE0EEENS1_30default_config_static_selectorELNS0_4arch9wavefront6targetE1EEEvT1_ ; -- Begin function _ZN7rocprim17ROCPRIM_400000_NS6detail17trampoline_kernelINS0_14default_configENS1_20scan_config_selectorIfEEZZNS1_9scan_implILNS1_25lookback_scan_determinismE0ELb1ELb1ES3_N6thrust23THRUST_200600_302600_NS6detail15normal_iteratorINS9_10device_ptrIKfEEEENSB_INSC_IfEEEEfNS9_4plusIvEEfEEDaPvRmT3_T4_T5_mT6_P12ihipStream_tbENKUlT_T0_E_clISt17integral_constantIbLb1EESW_IbLb0EEEEDaSS_ST_EUlSS_E0_NS1_11comp_targetILNS1_3genE9ELNS1_11target_archE1100ELNS1_3gpuE3ELNS1_3repE0EEENS1_30default_config_static_selectorELNS0_4arch9wavefront6targetE1EEEvT1_
	.globl	_ZN7rocprim17ROCPRIM_400000_NS6detail17trampoline_kernelINS0_14default_configENS1_20scan_config_selectorIfEEZZNS1_9scan_implILNS1_25lookback_scan_determinismE0ELb1ELb1ES3_N6thrust23THRUST_200600_302600_NS6detail15normal_iteratorINS9_10device_ptrIKfEEEENSB_INSC_IfEEEEfNS9_4plusIvEEfEEDaPvRmT3_T4_T5_mT6_P12ihipStream_tbENKUlT_T0_E_clISt17integral_constantIbLb1EESW_IbLb0EEEEDaSS_ST_EUlSS_E0_NS1_11comp_targetILNS1_3genE9ELNS1_11target_archE1100ELNS1_3gpuE3ELNS1_3repE0EEENS1_30default_config_static_selectorELNS0_4arch9wavefront6targetE1EEEvT1_
	.p2align	8
	.type	_ZN7rocprim17ROCPRIM_400000_NS6detail17trampoline_kernelINS0_14default_configENS1_20scan_config_selectorIfEEZZNS1_9scan_implILNS1_25lookback_scan_determinismE0ELb1ELb1ES3_N6thrust23THRUST_200600_302600_NS6detail15normal_iteratorINS9_10device_ptrIKfEEEENSB_INSC_IfEEEEfNS9_4plusIvEEfEEDaPvRmT3_T4_T5_mT6_P12ihipStream_tbENKUlT_T0_E_clISt17integral_constantIbLb1EESW_IbLb0EEEEDaSS_ST_EUlSS_E0_NS1_11comp_targetILNS1_3genE9ELNS1_11target_archE1100ELNS1_3gpuE3ELNS1_3repE0EEENS1_30default_config_static_selectorELNS0_4arch9wavefront6targetE1EEEvT1_,@function
_ZN7rocprim17ROCPRIM_400000_NS6detail17trampoline_kernelINS0_14default_configENS1_20scan_config_selectorIfEEZZNS1_9scan_implILNS1_25lookback_scan_determinismE0ELb1ELb1ES3_N6thrust23THRUST_200600_302600_NS6detail15normal_iteratorINS9_10device_ptrIKfEEEENSB_INSC_IfEEEEfNS9_4plusIvEEfEEDaPvRmT3_T4_T5_mT6_P12ihipStream_tbENKUlT_T0_E_clISt17integral_constantIbLb1EESW_IbLb0EEEEDaSS_ST_EUlSS_E0_NS1_11comp_targetILNS1_3genE9ELNS1_11target_archE1100ELNS1_3gpuE3ELNS1_3repE0EEENS1_30default_config_static_selectorELNS0_4arch9wavefront6targetE1EEEvT1_: ; @_ZN7rocprim17ROCPRIM_400000_NS6detail17trampoline_kernelINS0_14default_configENS1_20scan_config_selectorIfEEZZNS1_9scan_implILNS1_25lookback_scan_determinismE0ELb1ELb1ES3_N6thrust23THRUST_200600_302600_NS6detail15normal_iteratorINS9_10device_ptrIKfEEEENSB_INSC_IfEEEEfNS9_4plusIvEEfEEDaPvRmT3_T4_T5_mT6_P12ihipStream_tbENKUlT_T0_E_clISt17integral_constantIbLb1EESW_IbLb0EEEEDaSS_ST_EUlSS_E0_NS1_11comp_targetILNS1_3genE9ELNS1_11target_archE1100ELNS1_3gpuE3ELNS1_3repE0EEENS1_30default_config_static_selectorELNS0_4arch9wavefront6targetE1EEEvT1_
; %bb.0:
	.section	.rodata,"a",@progbits
	.p2align	6, 0x0
	.amdhsa_kernel _ZN7rocprim17ROCPRIM_400000_NS6detail17trampoline_kernelINS0_14default_configENS1_20scan_config_selectorIfEEZZNS1_9scan_implILNS1_25lookback_scan_determinismE0ELb1ELb1ES3_N6thrust23THRUST_200600_302600_NS6detail15normal_iteratorINS9_10device_ptrIKfEEEENSB_INSC_IfEEEEfNS9_4plusIvEEfEEDaPvRmT3_T4_T5_mT6_P12ihipStream_tbENKUlT_T0_E_clISt17integral_constantIbLb1EESW_IbLb0EEEEDaSS_ST_EUlSS_E0_NS1_11comp_targetILNS1_3genE9ELNS1_11target_archE1100ELNS1_3gpuE3ELNS1_3repE0EEENS1_30default_config_static_selectorELNS0_4arch9wavefront6targetE1EEEvT1_
		.amdhsa_group_segment_fixed_size 0
		.amdhsa_private_segment_fixed_size 0
		.amdhsa_kernarg_size 32
		.amdhsa_user_sgpr_count 2
		.amdhsa_user_sgpr_dispatch_ptr 0
		.amdhsa_user_sgpr_queue_ptr 0
		.amdhsa_user_sgpr_kernarg_segment_ptr 1
		.amdhsa_user_sgpr_dispatch_id 0
		.amdhsa_user_sgpr_kernarg_preload_length 0
		.amdhsa_user_sgpr_kernarg_preload_offset 0
		.amdhsa_user_sgpr_private_segment_size 0
		.amdhsa_uses_dynamic_stack 0
		.amdhsa_enable_private_segment 0
		.amdhsa_system_sgpr_workgroup_id_x 1
		.amdhsa_system_sgpr_workgroup_id_y 0
		.amdhsa_system_sgpr_workgroup_id_z 0
		.amdhsa_system_sgpr_workgroup_info 0
		.amdhsa_system_vgpr_workitem_id 0
		.amdhsa_next_free_vgpr 1
		.amdhsa_next_free_sgpr 0
		.amdhsa_accum_offset 4
		.amdhsa_reserve_vcc 0
		.amdhsa_float_round_mode_32 0
		.amdhsa_float_round_mode_16_64 0
		.amdhsa_float_denorm_mode_32 3
		.amdhsa_float_denorm_mode_16_64 3
		.amdhsa_dx10_clamp 1
		.amdhsa_ieee_mode 1
		.amdhsa_fp16_overflow 0
		.amdhsa_tg_split 0
		.amdhsa_exception_fp_ieee_invalid_op 0
		.amdhsa_exception_fp_denorm_src 0
		.amdhsa_exception_fp_ieee_div_zero 0
		.amdhsa_exception_fp_ieee_overflow 0
		.amdhsa_exception_fp_ieee_underflow 0
		.amdhsa_exception_fp_ieee_inexact 0
		.amdhsa_exception_int_div_zero 0
	.end_amdhsa_kernel
	.section	.text._ZN7rocprim17ROCPRIM_400000_NS6detail17trampoline_kernelINS0_14default_configENS1_20scan_config_selectorIfEEZZNS1_9scan_implILNS1_25lookback_scan_determinismE0ELb1ELb1ES3_N6thrust23THRUST_200600_302600_NS6detail15normal_iteratorINS9_10device_ptrIKfEEEENSB_INSC_IfEEEEfNS9_4plusIvEEfEEDaPvRmT3_T4_T5_mT6_P12ihipStream_tbENKUlT_T0_E_clISt17integral_constantIbLb1EESW_IbLb0EEEEDaSS_ST_EUlSS_E0_NS1_11comp_targetILNS1_3genE9ELNS1_11target_archE1100ELNS1_3gpuE3ELNS1_3repE0EEENS1_30default_config_static_selectorELNS0_4arch9wavefront6targetE1EEEvT1_,"axG",@progbits,_ZN7rocprim17ROCPRIM_400000_NS6detail17trampoline_kernelINS0_14default_configENS1_20scan_config_selectorIfEEZZNS1_9scan_implILNS1_25lookback_scan_determinismE0ELb1ELb1ES3_N6thrust23THRUST_200600_302600_NS6detail15normal_iteratorINS9_10device_ptrIKfEEEENSB_INSC_IfEEEEfNS9_4plusIvEEfEEDaPvRmT3_T4_T5_mT6_P12ihipStream_tbENKUlT_T0_E_clISt17integral_constantIbLb1EESW_IbLb0EEEEDaSS_ST_EUlSS_E0_NS1_11comp_targetILNS1_3genE9ELNS1_11target_archE1100ELNS1_3gpuE3ELNS1_3repE0EEENS1_30default_config_static_selectorELNS0_4arch9wavefront6targetE1EEEvT1_,comdat
.Lfunc_end64:
	.size	_ZN7rocprim17ROCPRIM_400000_NS6detail17trampoline_kernelINS0_14default_configENS1_20scan_config_selectorIfEEZZNS1_9scan_implILNS1_25lookback_scan_determinismE0ELb1ELb1ES3_N6thrust23THRUST_200600_302600_NS6detail15normal_iteratorINS9_10device_ptrIKfEEEENSB_INSC_IfEEEEfNS9_4plusIvEEfEEDaPvRmT3_T4_T5_mT6_P12ihipStream_tbENKUlT_T0_E_clISt17integral_constantIbLb1EESW_IbLb0EEEEDaSS_ST_EUlSS_E0_NS1_11comp_targetILNS1_3genE9ELNS1_11target_archE1100ELNS1_3gpuE3ELNS1_3repE0EEENS1_30default_config_static_selectorELNS0_4arch9wavefront6targetE1EEEvT1_, .Lfunc_end64-_ZN7rocprim17ROCPRIM_400000_NS6detail17trampoline_kernelINS0_14default_configENS1_20scan_config_selectorIfEEZZNS1_9scan_implILNS1_25lookback_scan_determinismE0ELb1ELb1ES3_N6thrust23THRUST_200600_302600_NS6detail15normal_iteratorINS9_10device_ptrIKfEEEENSB_INSC_IfEEEEfNS9_4plusIvEEfEEDaPvRmT3_T4_T5_mT6_P12ihipStream_tbENKUlT_T0_E_clISt17integral_constantIbLb1EESW_IbLb0EEEEDaSS_ST_EUlSS_E0_NS1_11comp_targetILNS1_3genE9ELNS1_11target_archE1100ELNS1_3gpuE3ELNS1_3repE0EEENS1_30default_config_static_selectorELNS0_4arch9wavefront6targetE1EEEvT1_
                                        ; -- End function
	.section	.AMDGPU.csdata,"",@progbits
; Kernel info:
; codeLenInByte = 0
; NumSgprs: 6
; NumVgprs: 0
; NumAgprs: 0
; TotalNumVgprs: 0
; ScratchSize: 0
; MemoryBound: 0
; FloatMode: 240
; IeeeMode: 1
; LDSByteSize: 0 bytes/workgroup (compile time only)
; SGPRBlocks: 0
; VGPRBlocks: 0
; NumSGPRsForWavesPerEU: 6
; NumVGPRsForWavesPerEU: 1
; AccumOffset: 4
; Occupancy: 8
; WaveLimiterHint : 0
; COMPUTE_PGM_RSRC2:SCRATCH_EN: 0
; COMPUTE_PGM_RSRC2:USER_SGPR: 2
; COMPUTE_PGM_RSRC2:TRAP_HANDLER: 0
; COMPUTE_PGM_RSRC2:TGID_X_EN: 1
; COMPUTE_PGM_RSRC2:TGID_Y_EN: 0
; COMPUTE_PGM_RSRC2:TGID_Z_EN: 0
; COMPUTE_PGM_RSRC2:TIDIG_COMP_CNT: 0
; COMPUTE_PGM_RSRC3_GFX90A:ACCUM_OFFSET: 0
; COMPUTE_PGM_RSRC3_GFX90A:TG_SPLIT: 0
	.section	.text._ZN7rocprim17ROCPRIM_400000_NS6detail17trampoline_kernelINS0_14default_configENS1_20scan_config_selectorIfEEZZNS1_9scan_implILNS1_25lookback_scan_determinismE0ELb1ELb1ES3_N6thrust23THRUST_200600_302600_NS6detail15normal_iteratorINS9_10device_ptrIKfEEEENSB_INSC_IfEEEEfNS9_4plusIvEEfEEDaPvRmT3_T4_T5_mT6_P12ihipStream_tbENKUlT_T0_E_clISt17integral_constantIbLb1EESW_IbLb0EEEEDaSS_ST_EUlSS_E0_NS1_11comp_targetILNS1_3genE8ELNS1_11target_archE1030ELNS1_3gpuE2ELNS1_3repE0EEENS1_30default_config_static_selectorELNS0_4arch9wavefront6targetE1EEEvT1_,"axG",@progbits,_ZN7rocprim17ROCPRIM_400000_NS6detail17trampoline_kernelINS0_14default_configENS1_20scan_config_selectorIfEEZZNS1_9scan_implILNS1_25lookback_scan_determinismE0ELb1ELb1ES3_N6thrust23THRUST_200600_302600_NS6detail15normal_iteratorINS9_10device_ptrIKfEEEENSB_INSC_IfEEEEfNS9_4plusIvEEfEEDaPvRmT3_T4_T5_mT6_P12ihipStream_tbENKUlT_T0_E_clISt17integral_constantIbLb1EESW_IbLb0EEEEDaSS_ST_EUlSS_E0_NS1_11comp_targetILNS1_3genE8ELNS1_11target_archE1030ELNS1_3gpuE2ELNS1_3repE0EEENS1_30default_config_static_selectorELNS0_4arch9wavefront6targetE1EEEvT1_,comdat
	.protected	_ZN7rocprim17ROCPRIM_400000_NS6detail17trampoline_kernelINS0_14default_configENS1_20scan_config_selectorIfEEZZNS1_9scan_implILNS1_25lookback_scan_determinismE0ELb1ELb1ES3_N6thrust23THRUST_200600_302600_NS6detail15normal_iteratorINS9_10device_ptrIKfEEEENSB_INSC_IfEEEEfNS9_4plusIvEEfEEDaPvRmT3_T4_T5_mT6_P12ihipStream_tbENKUlT_T0_E_clISt17integral_constantIbLb1EESW_IbLb0EEEEDaSS_ST_EUlSS_E0_NS1_11comp_targetILNS1_3genE8ELNS1_11target_archE1030ELNS1_3gpuE2ELNS1_3repE0EEENS1_30default_config_static_selectorELNS0_4arch9wavefront6targetE1EEEvT1_ ; -- Begin function _ZN7rocprim17ROCPRIM_400000_NS6detail17trampoline_kernelINS0_14default_configENS1_20scan_config_selectorIfEEZZNS1_9scan_implILNS1_25lookback_scan_determinismE0ELb1ELb1ES3_N6thrust23THRUST_200600_302600_NS6detail15normal_iteratorINS9_10device_ptrIKfEEEENSB_INSC_IfEEEEfNS9_4plusIvEEfEEDaPvRmT3_T4_T5_mT6_P12ihipStream_tbENKUlT_T0_E_clISt17integral_constantIbLb1EESW_IbLb0EEEEDaSS_ST_EUlSS_E0_NS1_11comp_targetILNS1_3genE8ELNS1_11target_archE1030ELNS1_3gpuE2ELNS1_3repE0EEENS1_30default_config_static_selectorELNS0_4arch9wavefront6targetE1EEEvT1_
	.globl	_ZN7rocprim17ROCPRIM_400000_NS6detail17trampoline_kernelINS0_14default_configENS1_20scan_config_selectorIfEEZZNS1_9scan_implILNS1_25lookback_scan_determinismE0ELb1ELb1ES3_N6thrust23THRUST_200600_302600_NS6detail15normal_iteratorINS9_10device_ptrIKfEEEENSB_INSC_IfEEEEfNS9_4plusIvEEfEEDaPvRmT3_T4_T5_mT6_P12ihipStream_tbENKUlT_T0_E_clISt17integral_constantIbLb1EESW_IbLb0EEEEDaSS_ST_EUlSS_E0_NS1_11comp_targetILNS1_3genE8ELNS1_11target_archE1030ELNS1_3gpuE2ELNS1_3repE0EEENS1_30default_config_static_selectorELNS0_4arch9wavefront6targetE1EEEvT1_
	.p2align	8
	.type	_ZN7rocprim17ROCPRIM_400000_NS6detail17trampoline_kernelINS0_14default_configENS1_20scan_config_selectorIfEEZZNS1_9scan_implILNS1_25lookback_scan_determinismE0ELb1ELb1ES3_N6thrust23THRUST_200600_302600_NS6detail15normal_iteratorINS9_10device_ptrIKfEEEENSB_INSC_IfEEEEfNS9_4plusIvEEfEEDaPvRmT3_T4_T5_mT6_P12ihipStream_tbENKUlT_T0_E_clISt17integral_constantIbLb1EESW_IbLb0EEEEDaSS_ST_EUlSS_E0_NS1_11comp_targetILNS1_3genE8ELNS1_11target_archE1030ELNS1_3gpuE2ELNS1_3repE0EEENS1_30default_config_static_selectorELNS0_4arch9wavefront6targetE1EEEvT1_,@function
_ZN7rocprim17ROCPRIM_400000_NS6detail17trampoline_kernelINS0_14default_configENS1_20scan_config_selectorIfEEZZNS1_9scan_implILNS1_25lookback_scan_determinismE0ELb1ELb1ES3_N6thrust23THRUST_200600_302600_NS6detail15normal_iteratorINS9_10device_ptrIKfEEEENSB_INSC_IfEEEEfNS9_4plusIvEEfEEDaPvRmT3_T4_T5_mT6_P12ihipStream_tbENKUlT_T0_E_clISt17integral_constantIbLb1EESW_IbLb0EEEEDaSS_ST_EUlSS_E0_NS1_11comp_targetILNS1_3genE8ELNS1_11target_archE1030ELNS1_3gpuE2ELNS1_3repE0EEENS1_30default_config_static_selectorELNS0_4arch9wavefront6targetE1EEEvT1_: ; @_ZN7rocprim17ROCPRIM_400000_NS6detail17trampoline_kernelINS0_14default_configENS1_20scan_config_selectorIfEEZZNS1_9scan_implILNS1_25lookback_scan_determinismE0ELb1ELb1ES3_N6thrust23THRUST_200600_302600_NS6detail15normal_iteratorINS9_10device_ptrIKfEEEENSB_INSC_IfEEEEfNS9_4plusIvEEfEEDaPvRmT3_T4_T5_mT6_P12ihipStream_tbENKUlT_T0_E_clISt17integral_constantIbLb1EESW_IbLb0EEEEDaSS_ST_EUlSS_E0_NS1_11comp_targetILNS1_3genE8ELNS1_11target_archE1030ELNS1_3gpuE2ELNS1_3repE0EEENS1_30default_config_static_selectorELNS0_4arch9wavefront6targetE1EEEvT1_
; %bb.0:
	.section	.rodata,"a",@progbits
	.p2align	6, 0x0
	.amdhsa_kernel _ZN7rocprim17ROCPRIM_400000_NS6detail17trampoline_kernelINS0_14default_configENS1_20scan_config_selectorIfEEZZNS1_9scan_implILNS1_25lookback_scan_determinismE0ELb1ELb1ES3_N6thrust23THRUST_200600_302600_NS6detail15normal_iteratorINS9_10device_ptrIKfEEEENSB_INSC_IfEEEEfNS9_4plusIvEEfEEDaPvRmT3_T4_T5_mT6_P12ihipStream_tbENKUlT_T0_E_clISt17integral_constantIbLb1EESW_IbLb0EEEEDaSS_ST_EUlSS_E0_NS1_11comp_targetILNS1_3genE8ELNS1_11target_archE1030ELNS1_3gpuE2ELNS1_3repE0EEENS1_30default_config_static_selectorELNS0_4arch9wavefront6targetE1EEEvT1_
		.amdhsa_group_segment_fixed_size 0
		.amdhsa_private_segment_fixed_size 0
		.amdhsa_kernarg_size 32
		.amdhsa_user_sgpr_count 2
		.amdhsa_user_sgpr_dispatch_ptr 0
		.amdhsa_user_sgpr_queue_ptr 0
		.amdhsa_user_sgpr_kernarg_segment_ptr 1
		.amdhsa_user_sgpr_dispatch_id 0
		.amdhsa_user_sgpr_kernarg_preload_length 0
		.amdhsa_user_sgpr_kernarg_preload_offset 0
		.amdhsa_user_sgpr_private_segment_size 0
		.amdhsa_uses_dynamic_stack 0
		.amdhsa_enable_private_segment 0
		.amdhsa_system_sgpr_workgroup_id_x 1
		.amdhsa_system_sgpr_workgroup_id_y 0
		.amdhsa_system_sgpr_workgroup_id_z 0
		.amdhsa_system_sgpr_workgroup_info 0
		.amdhsa_system_vgpr_workitem_id 0
		.amdhsa_next_free_vgpr 1
		.amdhsa_next_free_sgpr 0
		.amdhsa_accum_offset 4
		.amdhsa_reserve_vcc 0
		.amdhsa_float_round_mode_32 0
		.amdhsa_float_round_mode_16_64 0
		.amdhsa_float_denorm_mode_32 3
		.amdhsa_float_denorm_mode_16_64 3
		.amdhsa_dx10_clamp 1
		.amdhsa_ieee_mode 1
		.amdhsa_fp16_overflow 0
		.amdhsa_tg_split 0
		.amdhsa_exception_fp_ieee_invalid_op 0
		.amdhsa_exception_fp_denorm_src 0
		.amdhsa_exception_fp_ieee_div_zero 0
		.amdhsa_exception_fp_ieee_overflow 0
		.amdhsa_exception_fp_ieee_underflow 0
		.amdhsa_exception_fp_ieee_inexact 0
		.amdhsa_exception_int_div_zero 0
	.end_amdhsa_kernel
	.section	.text._ZN7rocprim17ROCPRIM_400000_NS6detail17trampoline_kernelINS0_14default_configENS1_20scan_config_selectorIfEEZZNS1_9scan_implILNS1_25lookback_scan_determinismE0ELb1ELb1ES3_N6thrust23THRUST_200600_302600_NS6detail15normal_iteratorINS9_10device_ptrIKfEEEENSB_INSC_IfEEEEfNS9_4plusIvEEfEEDaPvRmT3_T4_T5_mT6_P12ihipStream_tbENKUlT_T0_E_clISt17integral_constantIbLb1EESW_IbLb0EEEEDaSS_ST_EUlSS_E0_NS1_11comp_targetILNS1_3genE8ELNS1_11target_archE1030ELNS1_3gpuE2ELNS1_3repE0EEENS1_30default_config_static_selectorELNS0_4arch9wavefront6targetE1EEEvT1_,"axG",@progbits,_ZN7rocprim17ROCPRIM_400000_NS6detail17trampoline_kernelINS0_14default_configENS1_20scan_config_selectorIfEEZZNS1_9scan_implILNS1_25lookback_scan_determinismE0ELb1ELb1ES3_N6thrust23THRUST_200600_302600_NS6detail15normal_iteratorINS9_10device_ptrIKfEEEENSB_INSC_IfEEEEfNS9_4plusIvEEfEEDaPvRmT3_T4_T5_mT6_P12ihipStream_tbENKUlT_T0_E_clISt17integral_constantIbLb1EESW_IbLb0EEEEDaSS_ST_EUlSS_E0_NS1_11comp_targetILNS1_3genE8ELNS1_11target_archE1030ELNS1_3gpuE2ELNS1_3repE0EEENS1_30default_config_static_selectorELNS0_4arch9wavefront6targetE1EEEvT1_,comdat
.Lfunc_end65:
	.size	_ZN7rocprim17ROCPRIM_400000_NS6detail17trampoline_kernelINS0_14default_configENS1_20scan_config_selectorIfEEZZNS1_9scan_implILNS1_25lookback_scan_determinismE0ELb1ELb1ES3_N6thrust23THRUST_200600_302600_NS6detail15normal_iteratorINS9_10device_ptrIKfEEEENSB_INSC_IfEEEEfNS9_4plusIvEEfEEDaPvRmT3_T4_T5_mT6_P12ihipStream_tbENKUlT_T0_E_clISt17integral_constantIbLb1EESW_IbLb0EEEEDaSS_ST_EUlSS_E0_NS1_11comp_targetILNS1_3genE8ELNS1_11target_archE1030ELNS1_3gpuE2ELNS1_3repE0EEENS1_30default_config_static_selectorELNS0_4arch9wavefront6targetE1EEEvT1_, .Lfunc_end65-_ZN7rocprim17ROCPRIM_400000_NS6detail17trampoline_kernelINS0_14default_configENS1_20scan_config_selectorIfEEZZNS1_9scan_implILNS1_25lookback_scan_determinismE0ELb1ELb1ES3_N6thrust23THRUST_200600_302600_NS6detail15normal_iteratorINS9_10device_ptrIKfEEEENSB_INSC_IfEEEEfNS9_4plusIvEEfEEDaPvRmT3_T4_T5_mT6_P12ihipStream_tbENKUlT_T0_E_clISt17integral_constantIbLb1EESW_IbLb0EEEEDaSS_ST_EUlSS_E0_NS1_11comp_targetILNS1_3genE8ELNS1_11target_archE1030ELNS1_3gpuE2ELNS1_3repE0EEENS1_30default_config_static_selectorELNS0_4arch9wavefront6targetE1EEEvT1_
                                        ; -- End function
	.section	.AMDGPU.csdata,"",@progbits
; Kernel info:
; codeLenInByte = 0
; NumSgprs: 6
; NumVgprs: 0
; NumAgprs: 0
; TotalNumVgprs: 0
; ScratchSize: 0
; MemoryBound: 0
; FloatMode: 240
; IeeeMode: 1
; LDSByteSize: 0 bytes/workgroup (compile time only)
; SGPRBlocks: 0
; VGPRBlocks: 0
; NumSGPRsForWavesPerEU: 6
; NumVGPRsForWavesPerEU: 1
; AccumOffset: 4
; Occupancy: 8
; WaveLimiterHint : 0
; COMPUTE_PGM_RSRC2:SCRATCH_EN: 0
; COMPUTE_PGM_RSRC2:USER_SGPR: 2
; COMPUTE_PGM_RSRC2:TRAP_HANDLER: 0
; COMPUTE_PGM_RSRC2:TGID_X_EN: 1
; COMPUTE_PGM_RSRC2:TGID_Y_EN: 0
; COMPUTE_PGM_RSRC2:TGID_Z_EN: 0
; COMPUTE_PGM_RSRC2:TIDIG_COMP_CNT: 0
; COMPUTE_PGM_RSRC3_GFX90A:ACCUM_OFFSET: 0
; COMPUTE_PGM_RSRC3_GFX90A:TG_SPLIT: 0
	.section	.text._ZN7rocprim17ROCPRIM_400000_NS6detail31init_lookback_scan_state_kernelINS1_19lookback_scan_stateIfLb0ELb1EEENS1_16block_id_wrapperIjLb1EEEEEvT_jT0_jPNS7_10value_typeE,"axG",@progbits,_ZN7rocprim17ROCPRIM_400000_NS6detail31init_lookback_scan_state_kernelINS1_19lookback_scan_stateIfLb0ELb1EEENS1_16block_id_wrapperIjLb1EEEEEvT_jT0_jPNS7_10value_typeE,comdat
	.protected	_ZN7rocprim17ROCPRIM_400000_NS6detail31init_lookback_scan_state_kernelINS1_19lookback_scan_stateIfLb0ELb1EEENS1_16block_id_wrapperIjLb1EEEEEvT_jT0_jPNS7_10value_typeE ; -- Begin function _ZN7rocprim17ROCPRIM_400000_NS6detail31init_lookback_scan_state_kernelINS1_19lookback_scan_stateIfLb0ELb1EEENS1_16block_id_wrapperIjLb1EEEEEvT_jT0_jPNS7_10value_typeE
	.globl	_ZN7rocprim17ROCPRIM_400000_NS6detail31init_lookback_scan_state_kernelINS1_19lookback_scan_stateIfLb0ELb1EEENS1_16block_id_wrapperIjLb1EEEEEvT_jT0_jPNS7_10value_typeE
	.p2align	8
	.type	_ZN7rocprim17ROCPRIM_400000_NS6detail31init_lookback_scan_state_kernelINS1_19lookback_scan_stateIfLb0ELb1EEENS1_16block_id_wrapperIjLb1EEEEEvT_jT0_jPNS7_10value_typeE,@function
_ZN7rocprim17ROCPRIM_400000_NS6detail31init_lookback_scan_state_kernelINS1_19lookback_scan_stateIfLb0ELb1EEENS1_16block_id_wrapperIjLb1EEEEEvT_jT0_jPNS7_10value_typeE: ; @_ZN7rocprim17ROCPRIM_400000_NS6detail31init_lookback_scan_state_kernelINS1_19lookback_scan_stateIfLb0ELb1EEENS1_16block_id_wrapperIjLb1EEEEEvT_jT0_jPNS7_10value_typeE
; %bb.0:
	s_load_dword s3, s[0:1], 0x34
	s_load_dwordx2 s[6:7], s[0:1], 0x20
	s_load_dwordx2 s[4:5], s[0:1], 0x0
	s_load_dword s10, s[0:1], 0x8
	s_waitcnt lgkmcnt(0)
	s_and_b32 s3, s3, 0xffff
	s_mul_i32 s2, s2, s3
	s_cmp_eq_u64 s[6:7], 0
	v_add_u32_e32 v0, s2, v0
	s_cbranch_scc1 .LBB66_6
; %bb.1:
	s_load_dword s8, s[0:1], 0x18
	s_mov_b32 s9, 0
	s_waitcnt lgkmcnt(0)
	s_cmp_lt_u32 s8, s10
	s_cselect_b32 s2, s8, 0
	v_cmp_eq_u32_e32 vcc, s2, v0
	s_and_saveexec_b64 s[2:3], vcc
	s_cbranch_execz .LBB66_5
; %bb.2:
	s_add_i32 s8, s8, 64
	s_lshl_b64 s[8:9], s[8:9], 3
	s_add_u32 s8, s4, s8
	s_addc_u32 s9, s5, s9
	v_mov_b32_e32 v4, 0
	global_load_dwordx2 v[2:3], v4, s[8:9] sc1
	s_waitcnt vmcnt(0)
	v_and_b32_e32 v5, 0xff, v3
	v_cmp_ne_u64_e32 vcc, 0, v[4:5]
	s_cbranch_vccnz .LBB66_4
.LBB66_3:                               ; =>This Inner Loop Header: Depth=1
	global_load_dwordx2 v[2:3], v4, s[8:9] sc1
	s_waitcnt vmcnt(0)
	v_and_b32_e32 v5, 0xff, v3
	v_cmp_eq_u64_e32 vcc, 0, v[4:5]
	s_cbranch_vccnz .LBB66_3
.LBB66_4:
	v_mov_b32_e32 v1, 0
	global_store_dword v1, v2, s[6:7]
.LBB66_5:
	s_or_b64 exec, exec, s[2:3]
.LBB66_6:
	v_cmp_eq_u32_e32 vcc, 0, v0
	s_and_saveexec_b64 s[2:3], vcc
	s_cbranch_execnz .LBB66_10
; %bb.7:
	s_or_b64 exec, exec, s[2:3]
	v_cmp_gt_u32_e32 vcc, s10, v0
	s_and_saveexec_b64 s[0:1], vcc
	s_cbranch_execnz .LBB66_11
.LBB66_8:
	s_or_b64 exec, exec, s[0:1]
	v_cmp_gt_u32_e32 vcc, 64, v0
	s_and_saveexec_b64 s[0:1], vcc
	s_cbranch_execnz .LBB66_12
.LBB66_9:
	s_endpgm
.LBB66_10:
	s_load_dwordx2 s[0:1], s[0:1], 0x10
	v_mov_b32_e32 v1, 0
	s_waitcnt lgkmcnt(0)
	global_store_dword v1, v1, s[0:1]
	s_or_b64 exec, exec, s[2:3]
	v_cmp_gt_u32_e32 vcc, s10, v0
	s_and_saveexec_b64 s[0:1], vcc
	s_cbranch_execz .LBB66_8
.LBB66_11:
	v_add_u32_e32 v2, 64, v0
	v_mov_b32_e32 v3, 0
	v_lshl_add_u64 v[4:5], v[2:3], 3, s[4:5]
	v_mov_b32_e32 v2, v3
	global_store_dwordx2 v[4:5], v[2:3], off
	s_or_b64 exec, exec, s[0:1]
	v_cmp_gt_u32_e32 vcc, 64, v0
	s_and_saveexec_b64 s[0:1], vcc
	s_cbranch_execz .LBB66_9
.LBB66_12:
	v_mov_b32_e32 v1, 0
	v_lshl_add_u64 v[2:3], v[0:1], 3, s[4:5]
	v_mov_b32_e32 v5, 0xff
	v_mov_b32_e32 v4, v1
	global_store_dwordx2 v[2:3], v[4:5], off
	s_endpgm
	.section	.rodata,"a",@progbits
	.p2align	6, 0x0
	.amdhsa_kernel _ZN7rocprim17ROCPRIM_400000_NS6detail31init_lookback_scan_state_kernelINS1_19lookback_scan_stateIfLb0ELb1EEENS1_16block_id_wrapperIjLb1EEEEEvT_jT0_jPNS7_10value_typeE
		.amdhsa_group_segment_fixed_size 0
		.amdhsa_private_segment_fixed_size 0
		.amdhsa_kernarg_size 296
		.amdhsa_user_sgpr_count 2
		.amdhsa_user_sgpr_dispatch_ptr 0
		.amdhsa_user_sgpr_queue_ptr 0
		.amdhsa_user_sgpr_kernarg_segment_ptr 1
		.amdhsa_user_sgpr_dispatch_id 0
		.amdhsa_user_sgpr_kernarg_preload_length 0
		.amdhsa_user_sgpr_kernarg_preload_offset 0
		.amdhsa_user_sgpr_private_segment_size 0
		.amdhsa_uses_dynamic_stack 0
		.amdhsa_enable_private_segment 0
		.amdhsa_system_sgpr_workgroup_id_x 1
		.amdhsa_system_sgpr_workgroup_id_y 0
		.amdhsa_system_sgpr_workgroup_id_z 0
		.amdhsa_system_sgpr_workgroup_info 0
		.amdhsa_system_vgpr_workitem_id 0
		.amdhsa_next_free_vgpr 6
		.amdhsa_next_free_sgpr 11
		.amdhsa_accum_offset 8
		.amdhsa_reserve_vcc 1
		.amdhsa_float_round_mode_32 0
		.amdhsa_float_round_mode_16_64 0
		.amdhsa_float_denorm_mode_32 3
		.amdhsa_float_denorm_mode_16_64 3
		.amdhsa_dx10_clamp 1
		.amdhsa_ieee_mode 1
		.amdhsa_fp16_overflow 0
		.amdhsa_tg_split 0
		.amdhsa_exception_fp_ieee_invalid_op 0
		.amdhsa_exception_fp_denorm_src 0
		.amdhsa_exception_fp_ieee_div_zero 0
		.amdhsa_exception_fp_ieee_overflow 0
		.amdhsa_exception_fp_ieee_underflow 0
		.amdhsa_exception_fp_ieee_inexact 0
		.amdhsa_exception_int_div_zero 0
	.end_amdhsa_kernel
	.section	.text._ZN7rocprim17ROCPRIM_400000_NS6detail31init_lookback_scan_state_kernelINS1_19lookback_scan_stateIfLb0ELb1EEENS1_16block_id_wrapperIjLb1EEEEEvT_jT0_jPNS7_10value_typeE,"axG",@progbits,_ZN7rocprim17ROCPRIM_400000_NS6detail31init_lookback_scan_state_kernelINS1_19lookback_scan_stateIfLb0ELb1EEENS1_16block_id_wrapperIjLb1EEEEEvT_jT0_jPNS7_10value_typeE,comdat
.Lfunc_end66:
	.size	_ZN7rocprim17ROCPRIM_400000_NS6detail31init_lookback_scan_state_kernelINS1_19lookback_scan_stateIfLb0ELb1EEENS1_16block_id_wrapperIjLb1EEEEEvT_jT0_jPNS7_10value_typeE, .Lfunc_end66-_ZN7rocprim17ROCPRIM_400000_NS6detail31init_lookback_scan_state_kernelINS1_19lookback_scan_stateIfLb0ELb1EEENS1_16block_id_wrapperIjLb1EEEEEvT_jT0_jPNS7_10value_typeE
                                        ; -- End function
	.section	.AMDGPU.csdata,"",@progbits
; Kernel info:
; codeLenInByte = 356
; NumSgprs: 17
; NumVgprs: 6
; NumAgprs: 0
; TotalNumVgprs: 6
; ScratchSize: 0
; MemoryBound: 0
; FloatMode: 240
; IeeeMode: 1
; LDSByteSize: 0 bytes/workgroup (compile time only)
; SGPRBlocks: 2
; VGPRBlocks: 0
; NumSGPRsForWavesPerEU: 17
; NumVGPRsForWavesPerEU: 6
; AccumOffset: 8
; Occupancy: 8
; WaveLimiterHint : 0
; COMPUTE_PGM_RSRC2:SCRATCH_EN: 0
; COMPUTE_PGM_RSRC2:USER_SGPR: 2
; COMPUTE_PGM_RSRC2:TRAP_HANDLER: 0
; COMPUTE_PGM_RSRC2:TGID_X_EN: 1
; COMPUTE_PGM_RSRC2:TGID_Y_EN: 0
; COMPUTE_PGM_RSRC2:TGID_Z_EN: 0
; COMPUTE_PGM_RSRC2:TIDIG_COMP_CNT: 0
; COMPUTE_PGM_RSRC3_GFX90A:ACCUM_OFFSET: 1
; COMPUTE_PGM_RSRC3_GFX90A:TG_SPLIT: 0
	.section	.text._ZN7rocprim17ROCPRIM_400000_NS6detail17trampoline_kernelINS0_14default_configENS1_20scan_config_selectorIfEEZZNS1_9scan_implILNS1_25lookback_scan_determinismE0ELb1ELb1ES3_N6thrust23THRUST_200600_302600_NS6detail15normal_iteratorINS9_10device_ptrIKfEEEENSB_INSC_IfEEEEfNS9_4plusIvEEfEEDaPvRmT3_T4_T5_mT6_P12ihipStream_tbENKUlT_T0_E_clISt17integral_constantIbLb0EESW_IbLb1EEEEDaSS_ST_EUlSS_E_NS1_11comp_targetILNS1_3genE0ELNS1_11target_archE4294967295ELNS1_3gpuE0ELNS1_3repE0EEENS1_30default_config_static_selectorELNS0_4arch9wavefront6targetE1EEEvT1_,"axG",@progbits,_ZN7rocprim17ROCPRIM_400000_NS6detail17trampoline_kernelINS0_14default_configENS1_20scan_config_selectorIfEEZZNS1_9scan_implILNS1_25lookback_scan_determinismE0ELb1ELb1ES3_N6thrust23THRUST_200600_302600_NS6detail15normal_iteratorINS9_10device_ptrIKfEEEENSB_INSC_IfEEEEfNS9_4plusIvEEfEEDaPvRmT3_T4_T5_mT6_P12ihipStream_tbENKUlT_T0_E_clISt17integral_constantIbLb0EESW_IbLb1EEEEDaSS_ST_EUlSS_E_NS1_11comp_targetILNS1_3genE0ELNS1_11target_archE4294967295ELNS1_3gpuE0ELNS1_3repE0EEENS1_30default_config_static_selectorELNS0_4arch9wavefront6targetE1EEEvT1_,comdat
	.protected	_ZN7rocprim17ROCPRIM_400000_NS6detail17trampoline_kernelINS0_14default_configENS1_20scan_config_selectorIfEEZZNS1_9scan_implILNS1_25lookback_scan_determinismE0ELb1ELb1ES3_N6thrust23THRUST_200600_302600_NS6detail15normal_iteratorINS9_10device_ptrIKfEEEENSB_INSC_IfEEEEfNS9_4plusIvEEfEEDaPvRmT3_T4_T5_mT6_P12ihipStream_tbENKUlT_T0_E_clISt17integral_constantIbLb0EESW_IbLb1EEEEDaSS_ST_EUlSS_E_NS1_11comp_targetILNS1_3genE0ELNS1_11target_archE4294967295ELNS1_3gpuE0ELNS1_3repE0EEENS1_30default_config_static_selectorELNS0_4arch9wavefront6targetE1EEEvT1_ ; -- Begin function _ZN7rocprim17ROCPRIM_400000_NS6detail17trampoline_kernelINS0_14default_configENS1_20scan_config_selectorIfEEZZNS1_9scan_implILNS1_25lookback_scan_determinismE0ELb1ELb1ES3_N6thrust23THRUST_200600_302600_NS6detail15normal_iteratorINS9_10device_ptrIKfEEEENSB_INSC_IfEEEEfNS9_4plusIvEEfEEDaPvRmT3_T4_T5_mT6_P12ihipStream_tbENKUlT_T0_E_clISt17integral_constantIbLb0EESW_IbLb1EEEEDaSS_ST_EUlSS_E_NS1_11comp_targetILNS1_3genE0ELNS1_11target_archE4294967295ELNS1_3gpuE0ELNS1_3repE0EEENS1_30default_config_static_selectorELNS0_4arch9wavefront6targetE1EEEvT1_
	.globl	_ZN7rocprim17ROCPRIM_400000_NS6detail17trampoline_kernelINS0_14default_configENS1_20scan_config_selectorIfEEZZNS1_9scan_implILNS1_25lookback_scan_determinismE0ELb1ELb1ES3_N6thrust23THRUST_200600_302600_NS6detail15normal_iteratorINS9_10device_ptrIKfEEEENSB_INSC_IfEEEEfNS9_4plusIvEEfEEDaPvRmT3_T4_T5_mT6_P12ihipStream_tbENKUlT_T0_E_clISt17integral_constantIbLb0EESW_IbLb1EEEEDaSS_ST_EUlSS_E_NS1_11comp_targetILNS1_3genE0ELNS1_11target_archE4294967295ELNS1_3gpuE0ELNS1_3repE0EEENS1_30default_config_static_selectorELNS0_4arch9wavefront6targetE1EEEvT1_
	.p2align	8
	.type	_ZN7rocprim17ROCPRIM_400000_NS6detail17trampoline_kernelINS0_14default_configENS1_20scan_config_selectorIfEEZZNS1_9scan_implILNS1_25lookback_scan_determinismE0ELb1ELb1ES3_N6thrust23THRUST_200600_302600_NS6detail15normal_iteratorINS9_10device_ptrIKfEEEENSB_INSC_IfEEEEfNS9_4plusIvEEfEEDaPvRmT3_T4_T5_mT6_P12ihipStream_tbENKUlT_T0_E_clISt17integral_constantIbLb0EESW_IbLb1EEEEDaSS_ST_EUlSS_E_NS1_11comp_targetILNS1_3genE0ELNS1_11target_archE4294967295ELNS1_3gpuE0ELNS1_3repE0EEENS1_30default_config_static_selectorELNS0_4arch9wavefront6targetE1EEEvT1_,@function
_ZN7rocprim17ROCPRIM_400000_NS6detail17trampoline_kernelINS0_14default_configENS1_20scan_config_selectorIfEEZZNS1_9scan_implILNS1_25lookback_scan_determinismE0ELb1ELb1ES3_N6thrust23THRUST_200600_302600_NS6detail15normal_iteratorINS9_10device_ptrIKfEEEENSB_INSC_IfEEEEfNS9_4plusIvEEfEEDaPvRmT3_T4_T5_mT6_P12ihipStream_tbENKUlT_T0_E_clISt17integral_constantIbLb0EESW_IbLb1EEEEDaSS_ST_EUlSS_E_NS1_11comp_targetILNS1_3genE0ELNS1_11target_archE4294967295ELNS1_3gpuE0ELNS1_3repE0EEENS1_30default_config_static_selectorELNS0_4arch9wavefront6targetE1EEEvT1_: ; @_ZN7rocprim17ROCPRIM_400000_NS6detail17trampoline_kernelINS0_14default_configENS1_20scan_config_selectorIfEEZZNS1_9scan_implILNS1_25lookback_scan_determinismE0ELb1ELb1ES3_N6thrust23THRUST_200600_302600_NS6detail15normal_iteratorINS9_10device_ptrIKfEEEENSB_INSC_IfEEEEfNS9_4plusIvEEfEEDaPvRmT3_T4_T5_mT6_P12ihipStream_tbENKUlT_T0_E_clISt17integral_constantIbLb0EESW_IbLb1EEEEDaSS_ST_EUlSS_E_NS1_11comp_targetILNS1_3genE0ELNS1_11target_archE4294967295ELNS1_3gpuE0ELNS1_3repE0EEENS1_30default_config_static_selectorELNS0_4arch9wavefront6targetE1EEEvT1_
; %bb.0:
	.section	.rodata,"a",@progbits
	.p2align	6, 0x0
	.amdhsa_kernel _ZN7rocprim17ROCPRIM_400000_NS6detail17trampoline_kernelINS0_14default_configENS1_20scan_config_selectorIfEEZZNS1_9scan_implILNS1_25lookback_scan_determinismE0ELb1ELb1ES3_N6thrust23THRUST_200600_302600_NS6detail15normal_iteratorINS9_10device_ptrIKfEEEENSB_INSC_IfEEEEfNS9_4plusIvEEfEEDaPvRmT3_T4_T5_mT6_P12ihipStream_tbENKUlT_T0_E_clISt17integral_constantIbLb0EESW_IbLb1EEEEDaSS_ST_EUlSS_E_NS1_11comp_targetILNS1_3genE0ELNS1_11target_archE4294967295ELNS1_3gpuE0ELNS1_3repE0EEENS1_30default_config_static_selectorELNS0_4arch9wavefront6targetE1EEEvT1_
		.amdhsa_group_segment_fixed_size 0
		.amdhsa_private_segment_fixed_size 0
		.amdhsa_kernarg_size 96
		.amdhsa_user_sgpr_count 2
		.amdhsa_user_sgpr_dispatch_ptr 0
		.amdhsa_user_sgpr_queue_ptr 0
		.amdhsa_user_sgpr_kernarg_segment_ptr 1
		.amdhsa_user_sgpr_dispatch_id 0
		.amdhsa_user_sgpr_kernarg_preload_length 0
		.amdhsa_user_sgpr_kernarg_preload_offset 0
		.amdhsa_user_sgpr_private_segment_size 0
		.amdhsa_uses_dynamic_stack 0
		.amdhsa_enable_private_segment 0
		.amdhsa_system_sgpr_workgroup_id_x 1
		.amdhsa_system_sgpr_workgroup_id_y 0
		.amdhsa_system_sgpr_workgroup_id_z 0
		.amdhsa_system_sgpr_workgroup_info 0
		.amdhsa_system_vgpr_workitem_id 0
		.amdhsa_next_free_vgpr 1
		.amdhsa_next_free_sgpr 0
		.amdhsa_accum_offset 4
		.amdhsa_reserve_vcc 0
		.amdhsa_float_round_mode_32 0
		.amdhsa_float_round_mode_16_64 0
		.amdhsa_float_denorm_mode_32 3
		.amdhsa_float_denorm_mode_16_64 3
		.amdhsa_dx10_clamp 1
		.amdhsa_ieee_mode 1
		.amdhsa_fp16_overflow 0
		.amdhsa_tg_split 0
		.amdhsa_exception_fp_ieee_invalid_op 0
		.amdhsa_exception_fp_denorm_src 0
		.amdhsa_exception_fp_ieee_div_zero 0
		.amdhsa_exception_fp_ieee_overflow 0
		.amdhsa_exception_fp_ieee_underflow 0
		.amdhsa_exception_fp_ieee_inexact 0
		.amdhsa_exception_int_div_zero 0
	.end_amdhsa_kernel
	.section	.text._ZN7rocprim17ROCPRIM_400000_NS6detail17trampoline_kernelINS0_14default_configENS1_20scan_config_selectorIfEEZZNS1_9scan_implILNS1_25lookback_scan_determinismE0ELb1ELb1ES3_N6thrust23THRUST_200600_302600_NS6detail15normal_iteratorINS9_10device_ptrIKfEEEENSB_INSC_IfEEEEfNS9_4plusIvEEfEEDaPvRmT3_T4_T5_mT6_P12ihipStream_tbENKUlT_T0_E_clISt17integral_constantIbLb0EESW_IbLb1EEEEDaSS_ST_EUlSS_E_NS1_11comp_targetILNS1_3genE0ELNS1_11target_archE4294967295ELNS1_3gpuE0ELNS1_3repE0EEENS1_30default_config_static_selectorELNS0_4arch9wavefront6targetE1EEEvT1_,"axG",@progbits,_ZN7rocprim17ROCPRIM_400000_NS6detail17trampoline_kernelINS0_14default_configENS1_20scan_config_selectorIfEEZZNS1_9scan_implILNS1_25lookback_scan_determinismE0ELb1ELb1ES3_N6thrust23THRUST_200600_302600_NS6detail15normal_iteratorINS9_10device_ptrIKfEEEENSB_INSC_IfEEEEfNS9_4plusIvEEfEEDaPvRmT3_T4_T5_mT6_P12ihipStream_tbENKUlT_T0_E_clISt17integral_constantIbLb0EESW_IbLb1EEEEDaSS_ST_EUlSS_E_NS1_11comp_targetILNS1_3genE0ELNS1_11target_archE4294967295ELNS1_3gpuE0ELNS1_3repE0EEENS1_30default_config_static_selectorELNS0_4arch9wavefront6targetE1EEEvT1_,comdat
.Lfunc_end67:
	.size	_ZN7rocprim17ROCPRIM_400000_NS6detail17trampoline_kernelINS0_14default_configENS1_20scan_config_selectorIfEEZZNS1_9scan_implILNS1_25lookback_scan_determinismE0ELb1ELb1ES3_N6thrust23THRUST_200600_302600_NS6detail15normal_iteratorINS9_10device_ptrIKfEEEENSB_INSC_IfEEEEfNS9_4plusIvEEfEEDaPvRmT3_T4_T5_mT6_P12ihipStream_tbENKUlT_T0_E_clISt17integral_constantIbLb0EESW_IbLb1EEEEDaSS_ST_EUlSS_E_NS1_11comp_targetILNS1_3genE0ELNS1_11target_archE4294967295ELNS1_3gpuE0ELNS1_3repE0EEENS1_30default_config_static_selectorELNS0_4arch9wavefront6targetE1EEEvT1_, .Lfunc_end67-_ZN7rocprim17ROCPRIM_400000_NS6detail17trampoline_kernelINS0_14default_configENS1_20scan_config_selectorIfEEZZNS1_9scan_implILNS1_25lookback_scan_determinismE0ELb1ELb1ES3_N6thrust23THRUST_200600_302600_NS6detail15normal_iteratorINS9_10device_ptrIKfEEEENSB_INSC_IfEEEEfNS9_4plusIvEEfEEDaPvRmT3_T4_T5_mT6_P12ihipStream_tbENKUlT_T0_E_clISt17integral_constantIbLb0EESW_IbLb1EEEEDaSS_ST_EUlSS_E_NS1_11comp_targetILNS1_3genE0ELNS1_11target_archE4294967295ELNS1_3gpuE0ELNS1_3repE0EEENS1_30default_config_static_selectorELNS0_4arch9wavefront6targetE1EEEvT1_
                                        ; -- End function
	.section	.AMDGPU.csdata,"",@progbits
; Kernel info:
; codeLenInByte = 0
; NumSgprs: 6
; NumVgprs: 0
; NumAgprs: 0
; TotalNumVgprs: 0
; ScratchSize: 0
; MemoryBound: 0
; FloatMode: 240
; IeeeMode: 1
; LDSByteSize: 0 bytes/workgroup (compile time only)
; SGPRBlocks: 0
; VGPRBlocks: 0
; NumSGPRsForWavesPerEU: 6
; NumVGPRsForWavesPerEU: 1
; AccumOffset: 4
; Occupancy: 8
; WaveLimiterHint : 0
; COMPUTE_PGM_RSRC2:SCRATCH_EN: 0
; COMPUTE_PGM_RSRC2:USER_SGPR: 2
; COMPUTE_PGM_RSRC2:TRAP_HANDLER: 0
; COMPUTE_PGM_RSRC2:TGID_X_EN: 1
; COMPUTE_PGM_RSRC2:TGID_Y_EN: 0
; COMPUTE_PGM_RSRC2:TGID_Z_EN: 0
; COMPUTE_PGM_RSRC2:TIDIG_COMP_CNT: 0
; COMPUTE_PGM_RSRC3_GFX90A:ACCUM_OFFSET: 0
; COMPUTE_PGM_RSRC3_GFX90A:TG_SPLIT: 0
	.section	.text._ZN7rocprim17ROCPRIM_400000_NS6detail17trampoline_kernelINS0_14default_configENS1_20scan_config_selectorIfEEZZNS1_9scan_implILNS1_25lookback_scan_determinismE0ELb1ELb1ES3_N6thrust23THRUST_200600_302600_NS6detail15normal_iteratorINS9_10device_ptrIKfEEEENSB_INSC_IfEEEEfNS9_4plusIvEEfEEDaPvRmT3_T4_T5_mT6_P12ihipStream_tbENKUlT_T0_E_clISt17integral_constantIbLb0EESW_IbLb1EEEEDaSS_ST_EUlSS_E_NS1_11comp_targetILNS1_3genE5ELNS1_11target_archE942ELNS1_3gpuE9ELNS1_3repE0EEENS1_30default_config_static_selectorELNS0_4arch9wavefront6targetE1EEEvT1_,"axG",@progbits,_ZN7rocprim17ROCPRIM_400000_NS6detail17trampoline_kernelINS0_14default_configENS1_20scan_config_selectorIfEEZZNS1_9scan_implILNS1_25lookback_scan_determinismE0ELb1ELb1ES3_N6thrust23THRUST_200600_302600_NS6detail15normal_iteratorINS9_10device_ptrIKfEEEENSB_INSC_IfEEEEfNS9_4plusIvEEfEEDaPvRmT3_T4_T5_mT6_P12ihipStream_tbENKUlT_T0_E_clISt17integral_constantIbLb0EESW_IbLb1EEEEDaSS_ST_EUlSS_E_NS1_11comp_targetILNS1_3genE5ELNS1_11target_archE942ELNS1_3gpuE9ELNS1_3repE0EEENS1_30default_config_static_selectorELNS0_4arch9wavefront6targetE1EEEvT1_,comdat
	.protected	_ZN7rocprim17ROCPRIM_400000_NS6detail17trampoline_kernelINS0_14default_configENS1_20scan_config_selectorIfEEZZNS1_9scan_implILNS1_25lookback_scan_determinismE0ELb1ELb1ES3_N6thrust23THRUST_200600_302600_NS6detail15normal_iteratorINS9_10device_ptrIKfEEEENSB_INSC_IfEEEEfNS9_4plusIvEEfEEDaPvRmT3_T4_T5_mT6_P12ihipStream_tbENKUlT_T0_E_clISt17integral_constantIbLb0EESW_IbLb1EEEEDaSS_ST_EUlSS_E_NS1_11comp_targetILNS1_3genE5ELNS1_11target_archE942ELNS1_3gpuE9ELNS1_3repE0EEENS1_30default_config_static_selectorELNS0_4arch9wavefront6targetE1EEEvT1_ ; -- Begin function _ZN7rocprim17ROCPRIM_400000_NS6detail17trampoline_kernelINS0_14default_configENS1_20scan_config_selectorIfEEZZNS1_9scan_implILNS1_25lookback_scan_determinismE0ELb1ELb1ES3_N6thrust23THRUST_200600_302600_NS6detail15normal_iteratorINS9_10device_ptrIKfEEEENSB_INSC_IfEEEEfNS9_4plusIvEEfEEDaPvRmT3_T4_T5_mT6_P12ihipStream_tbENKUlT_T0_E_clISt17integral_constantIbLb0EESW_IbLb1EEEEDaSS_ST_EUlSS_E_NS1_11comp_targetILNS1_3genE5ELNS1_11target_archE942ELNS1_3gpuE9ELNS1_3repE0EEENS1_30default_config_static_selectorELNS0_4arch9wavefront6targetE1EEEvT1_
	.globl	_ZN7rocprim17ROCPRIM_400000_NS6detail17trampoline_kernelINS0_14default_configENS1_20scan_config_selectorIfEEZZNS1_9scan_implILNS1_25lookback_scan_determinismE0ELb1ELb1ES3_N6thrust23THRUST_200600_302600_NS6detail15normal_iteratorINS9_10device_ptrIKfEEEENSB_INSC_IfEEEEfNS9_4plusIvEEfEEDaPvRmT3_T4_T5_mT6_P12ihipStream_tbENKUlT_T0_E_clISt17integral_constantIbLb0EESW_IbLb1EEEEDaSS_ST_EUlSS_E_NS1_11comp_targetILNS1_3genE5ELNS1_11target_archE942ELNS1_3gpuE9ELNS1_3repE0EEENS1_30default_config_static_selectorELNS0_4arch9wavefront6targetE1EEEvT1_
	.p2align	8
	.type	_ZN7rocprim17ROCPRIM_400000_NS6detail17trampoline_kernelINS0_14default_configENS1_20scan_config_selectorIfEEZZNS1_9scan_implILNS1_25lookback_scan_determinismE0ELb1ELb1ES3_N6thrust23THRUST_200600_302600_NS6detail15normal_iteratorINS9_10device_ptrIKfEEEENSB_INSC_IfEEEEfNS9_4plusIvEEfEEDaPvRmT3_T4_T5_mT6_P12ihipStream_tbENKUlT_T0_E_clISt17integral_constantIbLb0EESW_IbLb1EEEEDaSS_ST_EUlSS_E_NS1_11comp_targetILNS1_3genE5ELNS1_11target_archE942ELNS1_3gpuE9ELNS1_3repE0EEENS1_30default_config_static_selectorELNS0_4arch9wavefront6targetE1EEEvT1_,@function
_ZN7rocprim17ROCPRIM_400000_NS6detail17trampoline_kernelINS0_14default_configENS1_20scan_config_selectorIfEEZZNS1_9scan_implILNS1_25lookback_scan_determinismE0ELb1ELb1ES3_N6thrust23THRUST_200600_302600_NS6detail15normal_iteratorINS9_10device_ptrIKfEEEENSB_INSC_IfEEEEfNS9_4plusIvEEfEEDaPvRmT3_T4_T5_mT6_P12ihipStream_tbENKUlT_T0_E_clISt17integral_constantIbLb0EESW_IbLb1EEEEDaSS_ST_EUlSS_E_NS1_11comp_targetILNS1_3genE5ELNS1_11target_archE942ELNS1_3gpuE9ELNS1_3repE0EEENS1_30default_config_static_selectorELNS0_4arch9wavefront6targetE1EEEvT1_: ; @_ZN7rocprim17ROCPRIM_400000_NS6detail17trampoline_kernelINS0_14default_configENS1_20scan_config_selectorIfEEZZNS1_9scan_implILNS1_25lookback_scan_determinismE0ELb1ELb1ES3_N6thrust23THRUST_200600_302600_NS6detail15normal_iteratorINS9_10device_ptrIKfEEEENSB_INSC_IfEEEEfNS9_4plusIvEEfEEDaPvRmT3_T4_T5_mT6_P12ihipStream_tbENKUlT_T0_E_clISt17integral_constantIbLb0EESW_IbLb1EEEEDaSS_ST_EUlSS_E_NS1_11comp_targetILNS1_3genE5ELNS1_11target_archE942ELNS1_3gpuE9ELNS1_3repE0EEENS1_30default_config_static_selectorELNS0_4arch9wavefront6targetE1EEEvT1_
; %bb.0:
	s_load_dword s37, s[0:1], 0x20
	s_load_dwordx2 s[14:15], s[0:1], 0x28
	v_cmp_ne_u32_e64 s[2:3], 0, v0
	v_cmp_eq_u32_e64 s[6:7], 0, v0
	s_and_saveexec_b64 s[4:5], s[6:7]
	s_cbranch_execz .LBB68_4
; %bb.1:
	s_mov_b64 s[10:11], exec
	v_mbcnt_lo_u32_b32 v1, s10, 0
	v_mbcnt_hi_u32_b32 v1, s11, v1
	v_cmp_eq_u32_e32 vcc, 0, v1
                                        ; implicit-def: $vgpr2
	s_and_saveexec_b64 s[8:9], vcc
	s_cbranch_execz .LBB68_3
; %bb.2:
	s_load_dwordx2 s[12:13], s[0:1], 0x58
	s_bcnt1_i32_b64 s10, s[10:11]
	v_mov_b32_e32 v2, 0
	v_mov_b32_e32 v3, s10
	s_waitcnt lgkmcnt(0)
	global_atomic_add v2, v2, v3, s[12:13] sc0
.LBB68_3:
	s_or_b64 exec, exec, s[8:9]
	s_waitcnt vmcnt(0)
	v_readfirstlane_b32 s8, v2
	v_mov_b32_e32 v2, 0
	s_nop 0
	v_add_u32_e32 v1, s8, v1
	ds_write_b32 v2, v1
.LBB68_4:
	s_or_b64 exec, exec, s[4:5]
	s_load_dwordx8 s[24:31], s[0:1], 0x0
	s_load_dword s4, s[0:1], 0x30
	s_load_dwordx8 s[16:23], s[0:1], 0x38
	v_mov_b32_e32 v31, 0
	s_waitcnt lgkmcnt(0)
	s_barrier
	ds_read_b32 v1, v31
	s_lshl_b64 s[34:35], s[26:27], 2
	s_add_u32 s38, s24, s34
	s_addc_u32 s39, s25, s35
	s_add_i32 s4, s4, -1
	s_mul_i32 s5, s4, 0x1800
	s_sub_u32 s33, s30, s5
	s_waitcnt lgkmcnt(0)
	v_readfirstlane_b32 s40, v1
	s_subb_u32 s36, s31, 0
	s_mul_i32 s0, s40, 0x1800
	s_mov_b32 s1, 0
	s_cmp_lg_u32 s40, s4
	s_cselect_b64 s[24:25], -1, 0
	s_lshl_b64 s[26:27], s[0:1], 2
	s_add_u32 s4, s38, s26
	s_addc_u32 s5, s39, s27
	s_mov_b64 s[0:1], -1
	s_and_b64 vcc, exec, s[24:25]
	v_lshlrev_b32_e32 v30, 2, v0
	s_barrier
	s_cbranch_vccz .LBB68_6
; %bb.5:
	v_lshl_add_u64 v[2:3], s[4:5], 0, v[30:31]
	v_add_co_u32_e32 v4, vcc, 0x1000, v2
	s_mov_b64 s[0:1], 0
	s_nop 0
	v_addc_co_u32_e32 v5, vcc, 0, v3, vcc
	flat_load_dword v1, v[2:3]
	flat_load_dword v8, v[2:3] offset:1024
	flat_load_dword v9, v[2:3] offset:2048
	;; [unrolled: 1-line block ×3, first 2 shown]
	flat_load_dword v11, v[4:5]
	flat_load_dword v12, v[4:5] offset:1024
	flat_load_dword v13, v[4:5] offset:2048
	;; [unrolled: 1-line block ×3, first 2 shown]
	v_add_co_u32_e32 v4, vcc, 0x2000, v2
	s_nop 1
	v_addc_co_u32_e32 v5, vcc, 0, v3, vcc
	v_add_co_u32_e32 v6, vcc, 0x3000, v2
	s_nop 1
	v_addc_co_u32_e32 v7, vcc, 0, v3, vcc
	flat_load_dword v15, v[4:5]
	flat_load_dword v16, v[4:5] offset:1024
	flat_load_dword v17, v[4:5] offset:2048
	;; [unrolled: 1-line block ×3, first 2 shown]
	flat_load_dword v19, v[6:7]
	flat_load_dword v20, v[6:7] offset:1024
	flat_load_dword v21, v[6:7] offset:2048
	;; [unrolled: 1-line block ×3, first 2 shown]
	v_add_co_u32_e32 v4, vcc, 0x4000, v2
	s_nop 1
	v_addc_co_u32_e32 v5, vcc, 0, v3, vcc
	v_add_co_u32_e32 v2, vcc, 0x5000, v2
	s_nop 1
	v_addc_co_u32_e32 v3, vcc, 0, v3, vcc
	flat_load_dword v6, v[4:5]
	flat_load_dword v7, v[4:5] offset:1024
	flat_load_dword v23, v[4:5] offset:2048
	;; [unrolled: 1-line block ×3, first 2 shown]
	flat_load_dword v25, v[2:3]
	flat_load_dword v26, v[2:3] offset:1024
	flat_load_dword v27, v[2:3] offset:2048
	;; [unrolled: 1-line block ×3, first 2 shown]
	s_waitcnt vmcnt(0) lgkmcnt(0)
	ds_write2st64_b32 v30, v1, v8 offset1:4
	ds_write2st64_b32 v30, v9, v10 offset0:8 offset1:12
	ds_write2st64_b32 v30, v11, v12 offset0:16 offset1:20
	;; [unrolled: 1-line block ×11, first 2 shown]
	s_waitcnt lgkmcnt(0)
	s_barrier
.LBB68_6:
	s_andn2_b64 vcc, exec, s[0:1]
	v_cmp_gt_u32_e64 s[0:1], s33, v0
	s_cbranch_vccnz .LBB68_56
; %bb.7:
	v_mov_b64_e32 v[2:3], s[4:5]
	flat_load_dword v1, v[2:3]
	s_waitcnt vmcnt(0) lgkmcnt(0)
	v_mov_b32_e32 v2, v1
	s_and_saveexec_b64 s[8:9], s[0:1]
	s_cbranch_execz .LBB68_9
; %bb.8:
	v_mov_b32_e32 v31, 0
	v_lshl_add_u64 v[2:3], s[4:5], 0, v[30:31]
	flat_load_dword v2, v[2:3]
.LBB68_9:
	s_or_b64 exec, exec, s[8:9]
	v_or_b32_e32 v3, 0x100, v0
	v_cmp_gt_u32_e32 vcc, s33, v3
	v_mov_b32_e32 v3, v1
	s_and_saveexec_b64 s[0:1], vcc
	s_cbranch_execz .LBB68_11
; %bb.10:
	v_mov_b32_e32 v31, 0
	v_lshl_add_u64 v[4:5], s[4:5], 0, v[30:31]
	flat_load_dword v3, v[4:5] offset:1024
.LBB68_11:
	s_or_b64 exec, exec, s[0:1]
	v_or_b32_e32 v4, 0x200, v0
	v_cmp_gt_u32_e32 vcc, s33, v4
	v_mov_b32_e32 v4, v1
	s_and_saveexec_b64 s[0:1], vcc
	s_cbranch_execz .LBB68_13
; %bb.12:
	v_mov_b32_e32 v31, 0
	v_lshl_add_u64 v[4:5], s[4:5], 0, v[30:31]
	flat_load_dword v4, v[4:5] offset:2048
.LBB68_13:
	;; [unrolled: 11-line block ×3, first 2 shown]
	s_or_b64 exec, exec, s[0:1]
	v_or_b32_e32 v7, 0x400, v0
	v_cmp_gt_u32_e32 vcc, s33, v7
	v_mov_b32_e32 v6, v1
	s_and_saveexec_b64 s[0:1], vcc
	s_cbranch_execz .LBB68_17
; %bb.16:
	v_lshlrev_b32_e32 v6, 2, v7
	v_mov_b32_e32 v7, 0
	v_lshl_add_u64 v[6:7], s[4:5], 0, v[6:7]
	flat_load_dword v6, v[6:7]
.LBB68_17:
	s_or_b64 exec, exec, s[0:1]
	v_or_b32_e32 v8, 0x500, v0
	v_cmp_gt_u32_e32 vcc, s33, v8
	v_mov_b32_e32 v7, v1
	s_and_saveexec_b64 s[0:1], vcc
	s_cbranch_execz .LBB68_19
; %bb.18:
	v_lshlrev_b32_e32 v8, 2, v8
	v_mov_b32_e32 v9, 0
	v_lshl_add_u64 v[8:9], s[4:5], 0, v[8:9]
	flat_load_dword v7, v[8:9]
.LBB68_19:
	;; [unrolled: 12-line block ×19, first 2 shown]
	s_or_b64 exec, exec, s[0:1]
	v_or_b32_e32 v25, 0x1700, v0
	v_cmp_gt_u32_e32 vcc, s33, v25
	s_and_saveexec_b64 s[0:1], vcc
	s_cbranch_execz .LBB68_55
; %bb.54:
	v_lshlrev_b32_e32 v26, 2, v25
	v_mov_b32_e32 v27, 0
	v_lshl_add_u64 v[26:27], s[4:5], 0, v[26:27]
	flat_load_dword v1, v[26:27]
.LBB68_55:
	s_or_b64 exec, exec, s[0:1]
	s_waitcnt vmcnt(0) lgkmcnt(0)
	ds_write2st64_b32 v30, v2, v3 offset1:4
	ds_write2st64_b32 v30, v4, v5 offset0:8 offset1:12
	ds_write2st64_b32 v30, v6, v7 offset0:16 offset1:20
	;; [unrolled: 1-line block ×11, first 2 shown]
	s_waitcnt lgkmcnt(0)
	s_barrier
.LBB68_56:
	v_mul_u32_u24_e32 v38, 24, v0
	v_lshlrev_b32_e32 v1, 2, v38
	ds_read_b128 v[22:25], v1
	ds_read_b128 v[18:21], v1 offset:16
	ds_read_b128 v[14:17], v1 offset:32
	;; [unrolled: 1-line block ×5, first 2 shown]
	s_waitcnt lgkmcnt(5)
	v_add_f32_e32 v26, v22, v23
	s_cmp_lg_u32 s40, 0
	v_add_f32_e32 v39, v26, v24
	v_lshrrev_b32_e32 v31, 5, v0
	v_cmp_gt_u32_e32 vcc, 64, v0
	s_waitcnt lgkmcnt(0)
	s_barrier
	s_cbranch_scc0 .LBB68_81
; %bb.57:
	v_add_f32_e32 v26, v39, v25
	v_add_f32_e32 v26, v26, v18
	;; [unrolled: 1-line block ×21, first 2 shown]
	v_add_lshl_u32 v26, v31, v0, 2
	ds_write_b32 v26, v40
	s_waitcnt lgkmcnt(0)
	s_barrier
	s_and_saveexec_b64 s[10:11], vcc
	s_cbranch_execz .LBB68_59
; %bb.58:
	v_lshrrev_b32_e32 v26, 3, v0
	v_add_lshl_u32 v32, v26, v30, 2
	ds_read2_b32 v[26:27], v32 offset1:1
	ds_read2_b32 v[28:29], v32 offset0:2 offset1:3
	v_mbcnt_lo_u32_b32 v33, -1, 0
	v_mbcnt_hi_u32_b32 v33, -1, v33
	v_and_b32_e32 v34, 15, v33
	s_waitcnt lgkmcnt(1)
	v_add_f32_e32 v27, v26, v27
	s_waitcnt lgkmcnt(0)
	v_add_f32_e32 v27, v27, v28
	v_add_f32_e32 v27, v27, v29
	v_cmp_eq_u32_e64 s[0:1], 0, v34
	v_cmp_lt_u32_e64 s[4:5], 3, v34
	v_mov_b32_dpp v28, v27 row_shr:1 row_mask:0xf bank_mask:0xf
	v_add_f32_e32 v28, v27, v28
	v_cndmask_b32_e64 v27, v28, v27, s[0:1]
	v_cmp_lt_u32_e64 s[0:1], 1, v34
	v_cmp_lt_u32_e64 s[8:9], 31, v33
	v_mov_b32_dpp v28, v27 row_shr:2 row_mask:0xf bank_mask:0xf
	v_add_f32_e32 v28, v27, v28
	v_cndmask_b32_e64 v28, v27, v28, s[0:1]
	; wave barrier
	s_nop 1
	v_mov_b32_dpp v29, v28 row_shr:4 row_mask:0xf bank_mask:0xf
	v_add_f32_e32 v29, v28, v29
	v_cndmask_b32_e64 v28, v28, v29, s[4:5]
	v_cmp_lt_u32_e64 s[4:5], 7, v34
	v_and_b32_e32 v34, 16, v33
	v_mov_b32_dpp v29, v28 row_shr:8 row_mask:0xf bank_mask:0xf
	v_add_f32_e32 v29, v28, v29
	v_cndmask_b32_e64 v28, v28, v29, s[4:5]
	v_cmp_eq_u32_e64 s[4:5], 0, v34
	s_nop 0
	v_mov_b32_dpp v29, v28 row_bcast:15 row_mask:0xf bank_mask:0xf
	v_add_f32_e32 v29, v28, v29
	v_cndmask_b32_e64 v28, v29, v28, s[4:5]
	v_cmp_lt_u32_e64 s[4:5], 15, v33
	s_or_b64 s[0:1], s[4:5], s[0:1]
	v_mov_b32_dpp v29, v28 row_bcast:31 row_mask:0xf bank_mask:0xf
	v_add_f32_e32 v29, v28, v29
	v_cndmask_b32_e64 v28, v28, v29, s[8:9]
	v_cndmask_b32_e64 v27, v27, v28, s[0:1]
	v_add_u32_e32 v28, -1, v33
	v_and_b32_e32 v29, 64, v33
	v_cmp_lt_i32_e64 s[0:1], v28, v29
	s_nop 1
	v_cndmask_b32_e64 v28, v28, v33, s[0:1]
	v_lshlrev_b32_e32 v28, 2, v28
	ds_bpermute_b32 v27, v28, v27
	s_waitcnt lgkmcnt(0)
	v_add_f32_e32 v26, v26, v27
	v_cndmask_b32_e64 v28, v26, v40, s[6:7]
	ds_write_b32 v32, v28
	; wave barrier
	ds_read2_b32 v[26:27], v32 offset0:1 offset1:2
	ds_read_b32 v29, v32 offset:12
	s_waitcnt lgkmcnt(1)
	v_add_f32_e32 v26, v28, v26
	v_add_f32_e32 v27, v26, v27
	ds_write2_b32 v32, v26, v27 offset0:1 offset1:2
	s_waitcnt lgkmcnt(1)
	v_add_f32_e32 v26, v27, v29
	ds_write_b32 v32, v26 offset:12
.LBB68_59:
	s_or_b64 exec, exec, s[10:11]
	s_waitcnt lgkmcnt(0)
	s_barrier
	s_and_saveexec_b64 s[0:1], s[2:3]
	s_cbranch_execz .LBB68_61
; %bb.60:
	v_add_u32_e32 v26, -1, v0
	v_lshrrev_b32_e32 v27, 5, v26
	v_add_lshl_u32 v26, v27, v26, 2
	ds_read_b32 v40, v26
.LBB68_61:
	s_or_b64 exec, exec, s[0:1]
	s_and_saveexec_b64 s[30:31], vcc
	s_cbranch_execz .LBB68_80
; %bb.62:
	v_mov_b32_e32 v35, 0
	ds_read_b32 v26, v35 offset:1048
	v_mbcnt_lo_u32_b32 v27, -1, 0
	v_mbcnt_hi_u32_b32 v29, -1, v27
	s_mov_b32 s9, 0
	v_cmp_eq_u32_e64 s[4:5], 0, v29
	s_and_saveexec_b64 s[0:1], s[4:5]
	s_cbranch_execz .LBB68_64
; %bb.63:
	s_add_i32 s8, s40, 64
	s_lshl_b64 s[8:9], s[8:9], 3
	s_add_u32 s8, s14, s8
	v_mov_b32_e32 v27, 1
	s_addc_u32 s9, s15, s9
	s_waitcnt lgkmcnt(0)
	global_store_dwordx2 v35, v[26:27], s[8:9] sc1
.LBB68_64:
	s_or_b64 exec, exec, s[0:1]
	v_xad_u32 v28, v29, -1, s40
	v_add_u32_e32 v34, 64, v28
	v_lshl_add_u64 v[36:37], v[34:35], 3, s[14:15]
	global_load_dwordx2 v[32:33], v[36:37], off sc1
	s_waitcnt vmcnt(0)
	v_cmp_eq_u16_sdwa s[8:9], v33, v35 src0_sel:BYTE_0 src1_sel:DWORD
	s_and_saveexec_b64 s[0:1], s[8:9]
	s_cbranch_execz .LBB68_68
; %bb.65:
	s_mov_b64 s[8:9], 0
	v_mov_b32_e32 v27, 0
.LBB68_66:                              ; =>This Inner Loop Header: Depth=1
	global_load_dwordx2 v[32:33], v[36:37], off sc1
	s_waitcnt vmcnt(0)
	v_cmp_ne_u16_sdwa s[10:11], v33, v27 src0_sel:BYTE_0 src1_sel:DWORD
	s_or_b64 s[8:9], s[10:11], s[8:9]
	s_andn2_b64 exec, exec, s[8:9]
	s_cbranch_execnz .LBB68_66
; %bb.67:
	s_or_b64 exec, exec, s[8:9]
.LBB68_68:
	s_or_b64 exec, exec, s[0:1]
	v_and_b32_e32 v41, 63, v29
	v_cmp_ne_u32_e32 vcc, 63, v41
	v_mov_b32_e32 v27, 2
	v_cmp_eq_u16_sdwa s[0:1], v33, v27 src0_sel:BYTE_0 src1_sel:DWORD
	v_addc_co_u32_e32 v42, vcc, 0, v29, vcc
	v_lshlrev_b32_e32 v42, 2, v42
	v_lshlrev_b64 v[34:35], v29, -1
	ds_bpermute_b32 v43, v42, v32
	v_and_b32_e32 v36, s1, v35
	v_or_b32_e32 v36, 0x80000000, v36
	v_and_b32_e32 v37, s0, v34
	v_ffbl_b32_e32 v36, v36
	v_add_u32_e32 v36, 32, v36
	v_ffbl_b32_e32 v37, v37
	v_cmp_gt_u32_e64 s[0:1], 62, v41
	v_min_u32_e32 v36, v37, v36
	s_waitcnt lgkmcnt(0)
	v_add_f32_e32 v37, v32, v43
	v_cndmask_b32_e64 v43, 0, 1, s[0:1]
	v_cmp_lt_u32_e32 vcc, v41, v36
	v_lshlrev_b32_e32 v43, 1, v43
	v_add_lshl_u32 v43, v43, v29, 2
	v_cndmask_b32_e32 v37, v32, v37, vcc
	ds_bpermute_b32 v45, v43, v37
	v_add_u32_e32 v44, 2, v41
	v_cmp_gt_u32_e64 s[0:1], v44, v36
	v_cmp_gt_u32_e64 s[8:9], 56, v41
	v_add_u32_e32 v46, 4, v41
	s_waitcnt lgkmcnt(0)
	v_add_f32_e32 v45, v37, v45
	v_cndmask_b32_e64 v37, v45, v37, s[0:1]
	v_cmp_gt_u32_e64 s[0:1], 60, v41
	v_add_u32_e32 v48, 8, v41
	v_cmp_gt_u32_e64 s[10:11], 48, v41
	v_cndmask_b32_e64 v45, 0, 1, s[0:1]
	v_lshlrev_b32_e32 v45, 2, v45
	v_add_lshl_u32 v45, v45, v29, 2
	ds_bpermute_b32 v47, v45, v37
	v_cmp_gt_u32_e64 s[0:1], v46, v36
	v_cmp_gt_u32_e64 s[12:13], 32, v41
	v_cndmask_b32_e32 v32, v32, v37, vcc
	s_waitcnt lgkmcnt(0)
	v_add_f32_e32 v51, v37, v47
	v_cndmask_b32_e64 v47, 0, 1, s[8:9]
	v_lshlrev_b32_e32 v47, 3, v47
	v_cndmask_b32_e64 v49, v51, v37, s[0:1]
	v_add_lshl_u32 v47, v47, v29, 2
	ds_bpermute_b32 v50, v47, v49
	v_cmp_gt_u32_e64 s[8:9], v48, v36
	v_cndmask_b32_e64 v32, v51, v32, s[0:1]
	s_waitcnt lgkmcnt(0)
	v_add_f32_e32 v54, v49, v50
	v_cndmask_b32_e64 v52, v54, v49, s[8:9]
	v_cndmask_b32_e64 v49, 0, 1, s[10:11]
	v_lshlrev_b32_e32 v49, 4, v49
	v_add_lshl_u32 v49, v49, v29, 2
	ds_bpermute_b32 v53, v49, v52
	v_add_u32_e32 v50, 16, v41
	v_cmp_gt_u32_e64 s[10:11], v50, v36
	v_cndmask_b32_e64 v32, v54, v32, s[8:9]
	s_waitcnt lgkmcnt(0)
	v_add_f32_e32 v55, v52, v53
	v_cndmask_b32_e64 v56, v55, v52, s[10:11]
	v_cndmask_b32_e64 v52, 0, 1, s[12:13]
	v_lshlrev_b32_e32 v52, 5, v52
	v_add_lshl_u32 v52, v52, v29, 2
	ds_bpermute_b32 v29, v52, v56
	v_add_u32_e32 v53, 32, v41
	v_cndmask_b32_e64 v32, v55, v32, s[10:11]
	v_cmp_gt_u32_e32 vcc, v53, v36
	s_waitcnt lgkmcnt(0)
	v_add_f32_e32 v29, v56, v29
	v_cndmask_b32_e32 v32, v29, v32, vcc
	v_mov_b32_e32 v29, 0
	s_branch .LBB68_70
.LBB68_69:                              ;   in Loop: Header=BB68_70 Depth=1
	s_or_b64 exec, exec, s[0:1]
	v_cmp_eq_u16_sdwa s[0:1], v33, v27 src0_sel:BYTE_0 src1_sel:DWORD
	ds_bpermute_b32 v54, v42, v32
	v_subrev_u32_e32 v28, 64, v28
	v_and_b32_e32 v36, s1, v35
	v_or_b32_e32 v36, 0x80000000, v36
	v_and_b32_e32 v37, s0, v34
	v_ffbl_b32_e32 v36, v36
	v_add_u32_e32 v36, 32, v36
	v_ffbl_b32_e32 v37, v37
	v_min_u32_e32 v36, v37, v36
	s_waitcnt lgkmcnt(0)
	v_add_f32_e32 v37, v32, v54
	v_cmp_lt_u32_e32 vcc, v41, v36
	v_cmp_gt_u32_e64 s[0:1], v44, v36
	v_cmp_gt_u32_e64 s[8:9], v48, v36
	v_cndmask_b32_e32 v37, v32, v37, vcc
	ds_bpermute_b32 v54, v43, v37
	v_cmp_gt_u32_e64 s[10:11], v50, v36
	s_waitcnt lgkmcnt(0)
	v_add_f32_e32 v54, v37, v54
	v_cndmask_b32_e64 v37, v54, v37, s[0:1]
	ds_bpermute_b32 v54, v45, v37
	v_cmp_gt_u32_e64 s[0:1], v46, v36
	v_cndmask_b32_e32 v32, v32, v37, vcc
	v_cmp_gt_u32_e32 vcc, v53, v36
	s_waitcnt lgkmcnt(0)
	v_add_f32_e32 v54, v37, v54
	v_cndmask_b32_e64 v55, v54, v37, s[0:1]
	ds_bpermute_b32 v56, v47, v55
	v_cndmask_b32_e64 v32, v54, v32, s[0:1]
	s_waitcnt lgkmcnt(0)
	v_add_f32_e32 v56, v55, v56
	v_cndmask_b32_e64 v55, v56, v55, s[8:9]
	ds_bpermute_b32 v57, v49, v55
	v_cndmask_b32_e64 v32, v56, v32, s[8:9]
	;; [unrolled: 5-line block ×3, first 2 shown]
	s_waitcnt lgkmcnt(0)
	v_add_f32_e32 v37, v55, v58
	v_cndmask_b32_e32 v32, v37, v32, vcc
	v_add_f32_e32 v32, v51, v32
.LBB68_70:                              ; =>This Loop Header: Depth=1
                                        ;     Child Loop BB68_73 Depth 2
	v_cmp_ne_u16_sdwa s[0:1], v33, v27 src0_sel:BYTE_0 src1_sel:DWORD
	v_mov_b32_e32 v51, v32
	s_nop 0
	v_cndmask_b32_e64 v33, 0, 1, s[0:1]
	;;#ASMSTART
	;;#ASMEND
	s_nop 0
	v_cmp_ne_u32_e32 vcc, 0, v33
	s_cmp_lg_u64 vcc, exec
	s_cbranch_scc1 .LBB68_75
; %bb.71:                               ;   in Loop: Header=BB68_70 Depth=1
	v_lshl_add_u64 v[36:37], v[28:29], 3, s[14:15]
	global_load_dwordx2 v[32:33], v[36:37], off sc1
	s_waitcnt vmcnt(0)
	v_cmp_eq_u16_sdwa s[8:9], v33, v29 src0_sel:BYTE_0 src1_sel:DWORD
	s_and_saveexec_b64 s[0:1], s[8:9]
	s_cbranch_execz .LBB68_69
; %bb.72:                               ;   in Loop: Header=BB68_70 Depth=1
	s_mov_b64 s[8:9], 0
.LBB68_73:                              ;   Parent Loop BB68_70 Depth=1
                                        ; =>  This Inner Loop Header: Depth=2
	global_load_dwordx2 v[32:33], v[36:37], off sc1
	s_waitcnt vmcnt(0)
	v_cmp_ne_u16_sdwa s[10:11], v33, v29 src0_sel:BYTE_0 src1_sel:DWORD
	s_or_b64 s[8:9], s[10:11], s[8:9]
	s_andn2_b64 exec, exec, s[8:9]
	s_cbranch_execnz .LBB68_73
; %bb.74:                               ;   in Loop: Header=BB68_70 Depth=1
	s_or_b64 exec, exec, s[8:9]
	s_branch .LBB68_69
.LBB68_75:                              ;   in Loop: Header=BB68_70 Depth=1
                                        ; implicit-def: $vgpr32
                                        ; implicit-def: $vgpr33
	s_cbranch_execz .LBB68_70
; %bb.76:
	s_and_saveexec_b64 s[0:1], s[4:5]
	s_cbranch_execz .LBB68_78
; %bb.77:
	s_add_i32 s4, s40, 64
	s_mov_b32 s5, 0
	s_lshl_b64 s[4:5], s[4:5], 3
	s_add_u32 s4, s14, s4
	v_add_f32_e32 v26, v26, v51
	v_mov_b32_e32 v27, 2
	s_addc_u32 s5, s15, s5
	v_mov_b32_e32 v28, 0
	global_store_dwordx2 v28, v[26:27], s[4:5] sc1
.LBB68_78:
	s_or_b64 exec, exec, s[0:1]
	s_and_b64 exec, exec, s[6:7]
	s_cbranch_execz .LBB68_80
; %bb.79:
	v_mov_b32_e32 v26, 0
	ds_write_b32 v26, v51
.LBB68_80:
	s_or_b64 exec, exec, s[30:31]
	v_mov_b32_e32 v26, 0
	s_waitcnt lgkmcnt(0)
	s_barrier
	ds_read_b32 v26, v26
	s_waitcnt lgkmcnt(0)
	v_add_f32_e32 v27, v40, v26
	v_cndmask_b32_e64 v26, v27, v26, s[6:7]
	s_branch .LBB68_91
.LBB68_81:
                                        ; implicit-def: $vgpr26
	s_cbranch_execz .LBB68_91
; %bb.82:
	s_cmp_eq_u64 s[20:21], 0
	v_mov_b32_e32 v27, s37
	s_cbranch_scc1 .LBB68_84
; %bb.83:
	v_mov_b32_e32 v27, s39
	v_add_co_u32_e64 v26, vcc, -4, s38
	v_mov_b32_e32 v28, 0
	s_nop 0
	v_addc_co_u32_e32 v27, vcc, -1, v27, vcc
	flat_load_dword v29, v[26:27]
	global_load_dword v32, v28, s[16:17]
	s_waitcnt vmcnt(0) lgkmcnt(0)
	v_add_f32_e32 v27, v29, v32
.LBB68_84:
	v_add_f32_e32 v26, v39, v25
	v_add_f32_e32 v26, v26, v18
	;; [unrolled: 1-line block ×21, first 2 shown]
	v_add_lshl_u32 v26, v31, v0, 2
	v_cmp_gt_u32_e32 vcc, 64, v0
	ds_write_b32 v26, v5
	s_waitcnt lgkmcnt(0)
	s_barrier
	s_and_saveexec_b64 s[8:9], vcc
	s_cbranch_execz .LBB68_86
; %bb.85:
	v_lshrrev_b32_e32 v26, 3, v0
	v_add_lshl_u32 v26, v26, v30, 2
	ds_read2_b32 v[28:29], v26 offset1:1
	ds_read2_b32 v[32:33], v26 offset0:2 offset1:3
	v_mbcnt_lo_u32_b32 v31, -1, 0
	v_mbcnt_hi_u32_b32 v31, -1, v31
	v_and_b32_e32 v34, 15, v31
	s_waitcnt lgkmcnt(1)
	v_add_f32_e32 v29, v28, v29
	s_waitcnt lgkmcnt(0)
	v_add_f32_e32 v29, v29, v32
	v_add_f32_e32 v29, v29, v33
	v_cmp_eq_u32_e32 vcc, 0, v34
	v_cmp_lt_u32_e64 s[0:1], 3, v34
	v_mov_b32_dpp v32, v29 row_shr:1 row_mask:0xf bank_mask:0xf
	v_add_f32_e32 v32, v29, v32
	v_cndmask_b32_e32 v29, v32, v29, vcc
	v_cmp_lt_u32_e32 vcc, 1, v34
	v_cmp_lt_u32_e64 s[4:5], 31, v31
	v_mov_b32_dpp v32, v29 row_shr:2 row_mask:0xf bank_mask:0xf
	v_add_f32_e32 v32, v29, v32
	v_cndmask_b32_e32 v32, v29, v32, vcc
	; wave barrier
	s_nop 1
	v_mov_b32_dpp v33, v32 row_shr:4 row_mask:0xf bank_mask:0xf
	v_add_f32_e32 v33, v32, v33
	v_cndmask_b32_e64 v32, v32, v33, s[0:1]
	v_cmp_lt_u32_e64 s[0:1], 7, v34
	v_and_b32_e32 v34, 16, v31
	v_mov_b32_dpp v33, v32 row_shr:8 row_mask:0xf bank_mask:0xf
	v_add_f32_e32 v33, v32, v33
	v_cndmask_b32_e64 v32, v32, v33, s[0:1]
	v_cmp_eq_u32_e64 s[0:1], 0, v34
	s_nop 0
	v_mov_b32_dpp v33, v32 row_bcast:15 row_mask:0xf bank_mask:0xf
	v_add_f32_e32 v33, v32, v33
	v_cndmask_b32_e64 v32, v33, v32, s[0:1]
	v_cmp_lt_u32_e64 s[0:1], 15, v31
	s_or_b64 vcc, s[0:1], vcc
	v_mov_b32_dpp v33, v32 row_bcast:31 row_mask:0xf bank_mask:0xf
	v_add_f32_e32 v33, v32, v33
	v_cndmask_b32_e64 v32, v32, v33, s[4:5]
	v_cndmask_b32_e32 v29, v29, v32, vcc
	v_add_u32_e32 v32, -1, v31
	v_and_b32_e32 v33, 64, v31
	v_cmp_lt_i32_e32 vcc, v32, v33
	s_nop 1
	v_cndmask_b32_e32 v31, v32, v31, vcc
	v_lshlrev_b32_e32 v31, 2, v31
	ds_bpermute_b32 v29, v31, v29
	s_waitcnt lgkmcnt(0)
	v_add_f32_e32 v28, v28, v29
	v_cndmask_b32_e64 v5, v28, v5, s[6:7]
	ds_write_b32 v26, v5
	; wave barrier
	ds_read2_b32 v[28:29], v26 offset0:1 offset1:2
	ds_read_b32 v31, v26 offset:12
	s_waitcnt lgkmcnt(1)
	v_add_f32_e32 v5, v5, v28
	v_add_f32_e32 v28, v5, v29
	ds_write2_b32 v26, v5, v28 offset0:1 offset1:2
	s_waitcnt lgkmcnt(1)
	v_add_f32_e32 v5, v28, v31
	ds_write_b32 v26, v5 offset:12
.LBB68_86:
	s_or_b64 exec, exec, s[8:9]
	v_mov_b32_e32 v26, v27
	s_waitcnt lgkmcnt(0)
	s_barrier
	s_and_saveexec_b64 s[0:1], s[2:3]
	s_cbranch_execz .LBB68_88
; %bb.87:
	v_add_u32_e32 v5, -1, v0
	v_lshrrev_b32_e32 v26, 5, v5
	v_add_lshl_u32 v5, v26, v5, 2
	ds_read_b32 v5, v5
	s_waitcnt lgkmcnt(0)
	v_add_f32_e32 v26, v27, v5
.LBB68_88:
	s_or_b64 exec, exec, s[0:1]
	s_and_saveexec_b64 s[0:1], s[6:7]
	s_cbranch_execz .LBB68_90
; %bb.89:
	v_mov_b32_e32 v5, 0
	ds_read_b32 v28, v5 offset:1048
	v_mov_b32_e32 v29, 2
	s_waitcnt lgkmcnt(0)
	v_add_f32_e32 v28, v27, v28
	global_store_dwordx2 v5, v[28:29], s[14:15] offset:512 sc1
.LBB68_90:
	s_or_b64 exec, exec, s[0:1]
.LBB68_91:
	v_add_f32_e32 v27, v22, v26
	v_add_f32_e32 v28, v23, v27
	;; [unrolled: 1-line block ×19, first 2 shown]
	s_add_u32 s0, s28, s34
	v_add_f32_e32 v6, v9, v13
	s_addc_u32 s1, s29, s35
	v_add_f32_e32 v7, v2, v6
	v_add_f32_e32 v8, v3, v7
	s_add_u32 s0, s0, s26
	v_add_f32_e32 v9, v4, v8
	s_addc_u32 s1, s1, s27
	s_mov_b64 s[2:3], -1
	s_and_b64 vcc, exec, s[24:25]
	s_barrier
	s_cbranch_vccz .LBB68_93
; %bb.92:
	v_mov_b32_e32 v31, 0
	ds_write_b128 v1, v[26:29]
	ds_write_b128 v1, v[22:25] offset:16
	ds_write_b128 v1, v[18:21] offset:32
	;; [unrolled: 1-line block ×5, first 2 shown]
	s_waitcnt lgkmcnt(0)
	s_barrier
	ds_read2st64_b32 v[2:3], v30 offset1:4
	ds_read2st64_b32 v[4:5], v30 offset0:8 offset1:12
	ds_read2st64_b32 v[32:33], v30 offset0:16 offset1:20
	;; [unrolled: 1-line block ×11, first 2 shown]
	v_lshl_add_u64 v[54:55], s[0:1], 0, v[30:31]
	s_movk_i32 s2, 0x1000
	s_waitcnt lgkmcnt(11)
	flat_store_dword v[54:55], v2
	flat_store_dword v[54:55], v3 offset:1024
	s_waitcnt lgkmcnt(0)
	flat_store_dword v[54:55], v4 offset:2048
	flat_store_dword v[54:55], v5 offset:3072
	v_add_co_u32_e32 v2, vcc, s2, v54
	s_movk_i32 s2, 0x2000
	s_nop 0
	v_addc_co_u32_e32 v3, vcc, 0, v55, vcc
	flat_store_dword v[2:3], v32
	flat_store_dword v[2:3], v33 offset:1024
	flat_store_dword v[2:3], v34 offset:2048
	flat_store_dword v[2:3], v35 offset:3072
	v_add_co_u32_e32 v2, vcc, s2, v54
	s_movk_i32 s2, 0x3000
	s_nop 0
	v_addc_co_u32_e32 v3, vcc, 0, v55, vcc
	flat_store_dword v[2:3], v36
	flat_store_dword v[2:3], v37 offset:1024
	;; [unrolled: 8-line block ×3, first 2 shown]
	flat_store_dword v[2:3], v44 offset:2048
	flat_store_dword v[2:3], v45 offset:3072
	v_add_co_u32_e32 v2, vcc, s2, v54
	s_mov_b64 s[2:3], 0
	s_nop 0
	v_addc_co_u32_e32 v3, vcc, 0, v55, vcc
	flat_store_dword v[2:3], v46
	flat_store_dword v[2:3], v47 offset:1024
	flat_store_dword v[2:3], v48 offset:2048
	;; [unrolled: 1-line block ×3, first 2 shown]
	v_add_co_u32_e32 v2, vcc, 0x5000, v54
	s_nop 1
	v_addc_co_u32_e32 v3, vcc, 0, v55, vcc
	flat_store_dword v[2:3], v50
	flat_store_dword v[2:3], v51 offset:1024
	flat_store_dword v[2:3], v52 offset:2048
	;; [unrolled: 1-line block ×3, first 2 shown]
.LBB68_93:
	s_andn2_b64 vcc, exec, s[2:3]
	s_cbranch_vccnz .LBB68_150
; %bb.94:
	s_movk_i32 s2, 0xffa4
	ds_write_b128 v1, v[26:29]
	ds_write_b128 v1, v[22:25] offset:16
	ds_write_b128 v1, v[18:21] offset:32
	;; [unrolled: 1-line block ×5, first 2 shown]
	v_mad_i32_i24 v1, v0, s2, v1
	s_waitcnt lgkmcnt(0)
	s_barrier
	ds_read2st64_b32 v[2:3], v1 offset1:4
	ds_read2st64_b32 v[4:5], v1 offset0:8 offset1:12
	ds_read2st64_b32 v[6:7], v1 offset0:16 offset1:20
	;; [unrolled: 1-line block ×11, first 2 shown]
	v_mov_b32_e32 v31, 0
	v_lshl_add_u64 v[26:27], s[0:1], 0, v[30:31]
	v_cmp_gt_u32_e32 vcc, s33, v0
	s_and_saveexec_b64 s[0:1], vcc
	s_cbranch_execz .LBB68_96
; %bb.95:
	s_waitcnt lgkmcnt(0)
	flat_store_dword v[26:27], v2
.LBB68_96:
	s_or_b64 exec, exec, s[0:1]
	v_or_b32_e32 v1, 0x100, v0
	v_cmp_gt_u32_e32 vcc, s33, v1
	s_and_saveexec_b64 s[0:1], vcc
	s_cbranch_execz .LBB68_98
; %bb.97:
	s_waitcnt lgkmcnt(0)
	flat_store_dword v[26:27], v3 offset:1024
.LBB68_98:
	s_or_b64 exec, exec, s[0:1]
	v_or_b32_e32 v1, 0x200, v0
	v_cmp_gt_u32_e32 vcc, s33, v1
	s_and_saveexec_b64 s[0:1], vcc
	s_cbranch_execz .LBB68_100
; %bb.99:
	s_waitcnt lgkmcnt(0)
	flat_store_dword v[26:27], v4 offset:2048
.LBB68_100:
	;; [unrolled: 9-line block ×3, first 2 shown]
	s_or_b64 exec, exec, s[0:1]
	v_or_b32_e32 v1, 0x400, v0
	v_cmp_gt_u32_e32 vcc, s33, v1
	s_and_saveexec_b64 s[0:1], vcc
	s_cbranch_execz .LBB68_104
; %bb.103:
	v_add_co_u32_e32 v28, vcc, 0x1000, v26
	s_nop 1
	v_addc_co_u32_e32 v29, vcc, 0, v27, vcc
	s_waitcnt lgkmcnt(0)
	flat_store_dword v[28:29], v6
.LBB68_104:
	s_or_b64 exec, exec, s[0:1]
	v_or_b32_e32 v1, 0x500, v0
	v_cmp_gt_u32_e32 vcc, s33, v1
	s_and_saveexec_b64 s[0:1], vcc
	s_cbranch_execz .LBB68_106
; %bb.105:
	v_add_co_u32_e32 v28, vcc, 0x1000, v26
	s_nop 1
	v_addc_co_u32_e32 v29, vcc, 0, v27, vcc
	s_waitcnt lgkmcnt(0)
	flat_store_dword v[28:29], v7 offset:1024
.LBB68_106:
	s_or_b64 exec, exec, s[0:1]
	v_or_b32_e32 v1, 0x600, v0
	v_cmp_gt_u32_e32 vcc, s33, v1
	s_and_saveexec_b64 s[0:1], vcc
	s_cbranch_execz .LBB68_108
; %bb.107:
	v_add_co_u32_e32 v28, vcc, 0x1000, v26
	s_nop 1
	v_addc_co_u32_e32 v29, vcc, 0, v27, vcc
	s_waitcnt lgkmcnt(0)
	flat_store_dword v[28:29], v16 offset:2048
.LBB68_108:
	s_or_b64 exec, exec, s[0:1]
	v_or_b32_e32 v1, 0x700, v0
	v_cmp_gt_u32_e32 vcc, s33, v1
	s_and_saveexec_b64 s[0:1], vcc
	s_cbranch_execz .LBB68_110
; %bb.109:
	v_add_co_u32_e32 v28, vcc, 0x1000, v26
	s_nop 1
	v_addc_co_u32_e32 v29, vcc, 0, v27, vcc
	s_waitcnt lgkmcnt(0)
	flat_store_dword v[28:29], v17 offset:3072
.LBB68_110:
	s_or_b64 exec, exec, s[0:1]
	v_or_b32_e32 v1, 0x800, v0
	v_cmp_gt_u32_e32 vcc, s33, v1
	s_and_saveexec_b64 s[0:1], vcc
	s_cbranch_execz .LBB68_112
; %bb.111:
	v_add_co_u32_e32 v28, vcc, 0x2000, v26
	s_nop 1
	v_addc_co_u32_e32 v29, vcc, 0, v27, vcc
	s_waitcnt lgkmcnt(0)
	flat_store_dword v[28:29], v14
.LBB68_112:
	s_or_b64 exec, exec, s[0:1]
	v_or_b32_e32 v1, 0x900, v0
	v_cmp_gt_u32_e32 vcc, s33, v1
	s_and_saveexec_b64 s[0:1], vcc
	s_cbranch_execz .LBB68_114
; %bb.113:
	v_add_co_u32_e32 v28, vcc, 0x2000, v26
	s_nop 1
	v_addc_co_u32_e32 v29, vcc, 0, v27, vcc
	s_waitcnt lgkmcnt(0)
	flat_store_dword v[28:29], v15 offset:1024
.LBB68_114:
	s_or_b64 exec, exec, s[0:1]
	v_or_b32_e32 v1, 0xa00, v0
	v_cmp_gt_u32_e32 vcc, s33, v1
	s_and_saveexec_b64 s[0:1], vcc
	s_cbranch_execz .LBB68_116
; %bb.115:
	v_add_co_u32_e32 v28, vcc, 0x2000, v26
	s_nop 1
	v_addc_co_u32_e32 v29, vcc, 0, v27, vcc
	s_waitcnt lgkmcnt(0)
	flat_store_dword v[28:29], v18 offset:2048
.LBB68_116:
	s_or_b64 exec, exec, s[0:1]
	v_or_b32_e32 v1, 0xb00, v0
	v_cmp_gt_u32_e32 vcc, s33, v1
	s_and_saveexec_b64 s[0:1], vcc
	s_cbranch_execz .LBB68_118
; %bb.117:
	v_add_co_u32_e32 v28, vcc, 0x2000, v26
	s_nop 1
	v_addc_co_u32_e32 v29, vcc, 0, v27, vcc
	s_waitcnt lgkmcnt(0)
	flat_store_dword v[28:29], v19 offset:3072
.LBB68_118:
	;; [unrolled: 48-line block ×5, first 2 shown]
	s_or_b64 exec, exec, s[0:1]
	v_cmp_lt_u64_e64 s[0:1], s[22:23], 2
	s_and_b64 vcc, exec, s[0:1]
	s_cbranch_vccnz .LBB68_150
; %bb.143:
	s_add_u32 s0, s33, -1
	s_addc_u32 s1, s36, -1
	s_add_u32 s2, 0, 0xaaaa0000
	s_addc_u32 s3, 0, 42
	s_add_i32 s3, s3, 0xaaaaa80
	s_mul_hi_u32 s7, s2, 0xffffffe8
	s_sub_i32 s7, s7, s2
	s_mul_i32 s8, s3, 0xffffffe8
	s_mul_i32 s4, s2, 0xffffffe8
	s_add_i32 s7, s7, s8
	s_mul_hi_u32 s5, s3, s4
	s_mul_i32 s6, s3, s4
	s_mul_i32 s9, s2, s7
	s_mul_hi_u32 s4, s2, s4
	s_mul_hi_u32 s8, s2, s7
	s_add_u32 s4, s4, s9
	s_addc_u32 s8, 0, s8
	s_add_u32 s4, s4, s6
	s_mul_hi_u32 s9, s3, s7
	s_addc_u32 s4, s8, s5
	s_addc_u32 s5, s9, 0
	s_mul_i32 s6, s3, s7
	s_add_u32 s4, s4, s6
	v_mov_b32_e32 v26, s4
	s_addc_u32 s5, 0, s5
	v_add_co_u32_e32 v26, vcc, s2, v26
	s_cmp_lg_u64 vcc, 0
	s_addc_u32 s2, s3, s5
	v_readfirstlane_b32 s5, v26
	s_mul_i32 s4, s0, s2
	s_mul_hi_u32 s6, s0, s5
	s_mul_hi_u32 s3, s0, s2
	s_add_u32 s4, s6, s4
	s_addc_u32 s3, 0, s3
	s_mul_hi_u32 s7, s1, s5
	s_mul_i32 s5, s1, s5
	s_add_u32 s4, s4, s5
	s_mul_hi_u32 s6, s1, s2
	s_addc_u32 s3, s3, s7
	s_addc_u32 s4, s6, 0
	s_mul_i32 s2, s1, s2
	s_add_u32 s2, s3, s2
	s_addc_u32 s3, 0, s4
	s_add_u32 s4, s2, 1
	s_addc_u32 s5, s3, 0
	s_add_u32 s6, s2, 2
	s_mul_i32 s8, s3, 24
	s_mul_hi_u32 s9, s2, 24
	s_addc_u32 s7, s3, 0
	s_add_i32 s9, s9, s8
	s_mul_i32 s8, s2, 24
	v_mov_b32_e32 v26, s8
	v_sub_co_u32_e32 v26, vcc, s0, v26
	s_cmp_lg_u64 vcc, 0
	s_subb_u32 s8, s1, s9
	v_subrev_co_u32_e32 v27, vcc, 24, v26
	s_cmp_lg_u64 vcc, 0
	s_subb_u32 s9, s8, 0
	v_readfirstlane_b32 s10, v27
	s_cmp_gt_u32 s10, 23
	s_cselect_b32 s10, -1, 0
	s_cmp_eq_u32 s9, 0
	s_cselect_b32 s9, s10, -1
	s_cmp_lg_u32 s9, 0
	s_cselect_b32 s4, s6, s4
	v_readfirstlane_b32 s6, v26
	s_cselect_b32 s5, s7, s5
	s_cmp_gt_u32 s6, 23
	s_cselect_b32 s6, -1, 0
	s_cmp_eq_u32 s8, 0
	s_cselect_b32 s6, s6, -1
	s_cmp_lg_u32 s6, 0
	v_mov_b32_e32 v1, v31
	s_cselect_b32 s3, s5, s3
	s_cselect_b32 s2, s4, s2
	v_cmp_eq_u64_e32 vcc, s[2:3], v[0:1]
	s_and_saveexec_b64 s[2:3], vcc
	s_cbranch_execz .LBB68_150
; %bb.144:
	v_mul_hi_u32_u24_e32 v1, 24, v0
	v_mov_b32_e32 v26, s1
	v_sub_co_u32_e32 v0, vcc, s0, v38
	s_mov_b64 s[0:1], 0
	s_nop 0
	v_subb_co_u32_e32 v1, vcc, v26, v1, vcc
	v_cmp_lt_i64_e32 vcc, 11, v[0:1]
	s_mov_b64 s[8:9], 0
	s_mov_b64 s[6:7], 0
	s_mov_b64 s[4:5], 0
	s_and_saveexec_b64 s[2:3], vcc
	s_xor_b64 s[2:3], exec, s[2:3]
	s_cbranch_execnz .LBB68_151
; %bb.145:
	s_andn2_saveexec_b64 s[2:3], s[2:3]
	s_cbranch_execnz .LBB68_196
.LBB68_146:
	s_or_b64 exec, exec, s[2:3]
	s_and_saveexec_b64 s[2:3], s[8:9]
	s_cbranch_execnz .LBB68_211
.LBB68_147:
	s_or_b64 exec, exec, s[2:3]
	s_and_saveexec_b64 s[2:3], s[6:7]
	s_cbranch_execnz .LBB68_212
.LBB68_148:
	s_or_b64 exec, exec, s[2:3]
	s_and_saveexec_b64 s[2:3], s[4:5]
	s_xor_b64 s[2:3], exec, s[2:3]
	s_cbranch_execnz .LBB68_213
.LBB68_149:
	s_or_b64 exec, exec, s[2:3]
	s_and_b64 exec, exec, s[0:1]
	s_cbranch_execnz .LBB68_214
.LBB68_150:
	s_endpgm
.LBB68_151:
	v_cmp_lt_i64_e32 vcc, 17, v[0:1]
	s_and_saveexec_b64 s[10:11], vcc
	s_xor_b64 s[10:11], exec, s[10:11]
	s_cbranch_execz .LBB68_173
; %bb.152:
	v_cmp_lt_i64_e32 vcc, 20, v[0:1]
                                        ; implicit-def: $vgpr9
	s_and_saveexec_b64 s[12:13], vcc
	s_xor_b64 s[12:13], exec, s[12:13]
	s_cbranch_execz .LBB68_162
; %bb.153:
	v_cmp_lt_i64_e32 vcc, 21, v[0:1]
	s_mov_b64 s[14:15], 0
                                        ; implicit-def: $vgpr9
	s_and_saveexec_b64 s[4:5], vcc
	s_xor_b64 s[4:5], exec, s[4:5]
	s_cbranch_execz .LBB68_159
; %bb.154:
	v_cmp_lt_i64_e32 vcc, 22, v[0:1]
	s_and_saveexec_b64 s[14:15], vcc
	s_xor_b64 s[14:15], exec, s[14:15]
	s_cbranch_execz .LBB68_156
; %bb.155:
	s_waitcnt lgkmcnt(0)
	v_mov_b32_e32 v8, 0
	global_store_dword v8, v25, s[18:19]
                                        ; implicit-def: $vgpr24
.LBB68_156:
	s_or_saveexec_b64 s[14:15], s[14:15]
	s_mov_b64 s[16:17], 0
	s_xor_b64 exec, exec, s[14:15]
; %bb.157:
	s_mov_b64 s[16:17], exec
; %bb.158:
	s_or_b64 exec, exec, s[14:15]
	s_and_b64 s[14:15], s[16:17], exec
	s_waitcnt lgkmcnt(0)
	v_mov_b32_e32 v9, v24
                                        ; implicit-def: $vgpr11
.LBB68_159:
	s_andn2_saveexec_b64 s[4:5], s[4:5]
; %bb.160:
	s_mov_b64 s[6:7], exec
                                        ; implicit-def: $vgpr9
; %bb.161:
	s_or_b64 exec, exec, s[4:5]
	s_and_b64 s[4:5], s[14:15], exec
	s_and_b64 s[6:7], s[6:7], exec
                                        ; implicit-def: $vgpr20_vgpr21
.LBB68_162:
	s_andn2_saveexec_b64 s[12:13], s[12:13]
	s_cbranch_execz .LBB68_172
; %bb.163:
	v_cmp_lt_i64_e32 vcc, 18, v[0:1]
	s_mov_b64 s[14:15], 0
	s_and_saveexec_b64 s[8:9], vcc
	s_xor_b64 s[8:9], exec, s[8:9]
	s_cbranch_execz .LBB68_169
; %bb.164:
	v_cmp_lt_i64_e32 vcc, 19, v[0:1]
	s_and_saveexec_b64 s[16:17], vcc
	s_xor_b64 s[16:17], exec, s[16:17]
; %bb.165:
	s_mov_b64 s[14:15], exec
                                        ; implicit-def: $vgpr20_vgpr21
; %bb.166:
	s_andn2_saveexec_b64 s[16:17], s[16:17]
	s_cbranch_execz .LBB68_168
; %bb.167:
	s_waitcnt lgkmcnt(0)
	v_mov_b32_e32 v8, 0
	global_store_dword v8, v21, s[18:19]
                                        ; implicit-def: $vgpr10
.LBB68_168:
	s_or_b64 exec, exec, s[16:17]
	s_and_b64 s[14:15], s[14:15], exec
                                        ; implicit-def: $vgpr20_vgpr21
.LBB68_169:
	s_andn2_saveexec_b64 s[8:9], s[8:9]
	s_cbranch_execz .LBB68_171
; %bb.170:
	s_waitcnt lgkmcnt(0)
	v_mov_b32_e32 v8, 0
	global_store_dword v8, v20, s[18:19]
                                        ; implicit-def: $vgpr10
.LBB68_171:
	s_or_b64 exec, exec, s[8:9]
	s_and_b64 s[8:9], s[14:15], exec
                                        ; implicit-def: $vgpr9
.LBB68_172:
	s_or_b64 exec, exec, s[12:13]
	s_and_b64 s[4:5], s[4:5], exec
	s_and_b64 s[6:7], s[6:7], exec
	s_and_b64 s[8:9], s[8:9], exec
                                        ; implicit-def: $vgpr12
                                        ; implicit-def: $vgpr22_vgpr23
.LBB68_173:
	s_andn2_saveexec_b64 s[10:11], s[10:11]
	s_cbranch_execz .LBB68_195
; %bb.174:
	v_cmp_lt_i64_e32 vcc, 14, v[0:1]
	s_mov_b64 s[12:13], s[4:5]
	s_and_saveexec_b64 s[14:15], vcc
	s_xor_b64 s[14:15], exec, s[14:15]
	s_cbranch_execz .LBB68_184
; %bb.175:
	v_cmp_lt_i64_e32 vcc, 15, v[0:1]
	s_and_saveexec_b64 s[12:13], vcc
	s_xor_b64 s[12:13], exec, s[12:13]
	s_cbranch_execz .LBB68_181
; %bb.176:
	v_cmp_lt_i64_e32 vcc, 16, v[0:1]
	s_and_saveexec_b64 s[16:17], vcc
	s_xor_b64 s[16:17], exec, s[16:17]
	s_cbranch_execz .LBB68_178
; %bb.177:
	s_waitcnt lgkmcnt(0)
	v_mov_b32_e32 v8, 0
	global_store_dword v8, v23, s[18:19]
                                        ; implicit-def: $vgpr22_vgpr23
.LBB68_178:
	s_andn2_saveexec_b64 s[16:17], s[16:17]
	s_cbranch_execz .LBB68_180
; %bb.179:
	s_waitcnt lgkmcnt(0)
	v_mov_b32_e32 v8, 0
	global_store_dword v8, v22, s[18:19]
.LBB68_180:
	s_or_b64 exec, exec, s[16:17]
                                        ; implicit-def: $vgpr9
.LBB68_181:
	s_or_saveexec_b64 s[12:13], s[12:13]
	s_mov_b64 s[16:17], s[4:5]
	s_xor_b64 exec, exec, s[12:13]
; %bb.182:
	s_or_b64 s[16:17], s[4:5], exec
; %bb.183:
	s_or_b64 exec, exec, s[12:13]
	s_andn2_b64 s[12:13], s[4:5], exec
	s_and_b64 s[16:17], s[16:17], exec
	s_or_b64 s[12:13], s[12:13], s[16:17]
                                        ; implicit-def: $vgpr12
.LBB68_184:
	s_or_saveexec_b64 s[14:15], s[14:15]
	s_mov_b64 s[16:17], s[6:7]
                                        ; implicit-def: $vgpr11
	s_xor_b64 exec, exec, s[14:15]
	s_cbranch_execz .LBB68_194
; %bb.185:
	v_cmp_lt_i64_e32 vcc, 12, v[0:1]
	s_mov_b64 s[20:21], s[6:7]
	s_mov_b64 s[22:23], s[12:13]
                                        ; implicit-def: $vgpr11
	s_and_saveexec_b64 s[16:17], vcc
	s_xor_b64 s[16:17], exec, s[16:17]
	s_cbranch_execz .LBB68_191
; %bb.186:
	v_cmp_lt_i64_e32 vcc, 13, v[0:1]
	s_mov_b64 s[20:21], s[12:13]
	s_and_saveexec_b64 s[22:23], vcc
	s_xor_b64 s[22:23], exec, s[22:23]
; %bb.187:
	s_or_b64 s[20:21], s[12:13], exec
                                        ; implicit-def: $vgpr13
; %bb.188:
	s_or_saveexec_b64 s[22:23], s[22:23]
	s_mov_b64 s[24:25], s[6:7]
	s_xor_b64 exec, exec, s[22:23]
; %bb.189:
	s_or_b64 s[24:25], s[6:7], exec
                                        ; implicit-def: $vgpr8
; %bb.190:
	s_or_b64 exec, exec, s[22:23]
	s_andn2_b64 s[22:23], s[12:13], exec
	s_and_b64 s[20:21], s[20:21], exec
	s_or_b64 s[22:23], s[22:23], s[20:21]
	s_andn2_b64 s[20:21], s[6:7], exec
	s_and_b64 s[24:25], s[24:25], exec
	s_or_b64 s[20:21], s[20:21], s[24:25]
	s_waitcnt lgkmcnt(0)
	v_mov_b32_e32 v9, v8
	v_mov_b32_e32 v11, v13
                                        ; implicit-def: $vgpr12
.LBB68_191:
	s_andn2_saveexec_b64 s[16:17], s[16:17]
	s_cbranch_execz .LBB68_193
; %bb.192:
	s_or_b64 s[20:21], s[20:21], exec
                                        ; implicit-def: $vgpr9
	s_waitcnt lgkmcnt(0)
	v_mov_b32_e32 v11, v12
.LBB68_193:
	s_or_b64 exec, exec, s[16:17]
	s_andn2_b64 s[12:13], s[12:13], exec
	s_and_b64 s[16:17], s[22:23], exec
	s_or_b64 s[12:13], s[12:13], s[16:17]
	s_andn2_b64 s[16:17], s[6:7], exec
	s_and_b64 s[20:21], s[20:21], exec
	s_or_b64 s[16:17], s[16:17], s[20:21]
.LBB68_194:
	s_or_b64 exec, exec, s[14:15]
	s_andn2_b64 s[4:5], s[4:5], exec
	s_and_b64 s[12:13], s[12:13], exec
	s_or_b64 s[4:5], s[4:5], s[12:13]
	s_andn2_b64 s[6:7], s[6:7], exec
	s_and_b64 s[12:13], s[16:17], exec
	s_or_b64 s[6:7], s[6:7], s[12:13]
.LBB68_195:
	s_or_b64 exec, exec, s[10:11]
	s_and_b64 s[4:5], s[4:5], exec
	s_and_b64 s[6:7], s[6:7], exec
	;; [unrolled: 1-line block ×3, first 2 shown]
                                        ; implicit-def: $vgpr16
                                        ; implicit-def: $vgpr14
                                        ; implicit-def: $vgpr18
	s_andn2_saveexec_b64 s[2:3], s[2:3]
	s_cbranch_execz .LBB68_146
.LBB68_196:
	v_cmp_lt_i64_e32 vcc, 5, v[0:1]
	s_mov_b64 s[12:13], -1
	s_mov_b64 s[10:11], s[8:9]
	s_mov_b64 s[14:15], s[6:7]
	;; [unrolled: 1-line block ×3, first 2 shown]
                                        ; implicit-def: $vgpr9
                                        ; implicit-def: $vgpr11
	s_and_saveexec_b64 s[0:1], vcc
	s_cbranch_execz .LBB68_210
; %bb.197:
	v_cmp_lt_i64_e32 vcc, 8, v[0:1]
	s_mov_b64 s[10:11], s[8:9]
                                        ; implicit-def: $vgpr10
	s_and_saveexec_b64 s[12:13], vcc
	s_xor_b64 s[12:13], exec, s[12:13]
	s_cbranch_execz .LBB68_205
; %bb.198:
	v_cmp_lt_i64_e32 vcc, 9, v[0:1]
	s_and_saveexec_b64 s[10:11], vcc
	s_xor_b64 s[10:11], exec, s[10:11]
	s_cbranch_execz .LBB68_202
; %bb.199:
	v_cmp_lt_i64_e32 vcc, 10, v[0:1]
	s_and_saveexec_b64 s[14:15], vcc
	s_xor_b64 s[14:15], exec, s[14:15]
	s_andn2_saveexec_b64 s[14:15], s[14:15]
	s_cbranch_execz .LBB68_201
; %bb.200:
	s_waitcnt lgkmcnt(0)
	v_mov_b32_e32 v19, v18
.LBB68_201:
	s_or_b64 exec, exec, s[14:15]
                                        ; implicit-def: $vgpr15
.LBB68_202:
	s_andn2_saveexec_b64 s[10:11], s[10:11]
	s_cbranch_execz .LBB68_204
; %bb.203:
	s_waitcnt lgkmcnt(0)
	v_mov_b32_e32 v19, v15
.LBB68_204:
	s_or_b64 exec, exec, s[10:11]
	s_or_b64 s[10:11], s[8:9], exec
	s_waitcnt lgkmcnt(0)
	v_mov_b32_e32 v10, v19
                                        ; implicit-def: $vgpr16
                                        ; implicit-def: $vgpr14
.LBB68_205:
	s_or_saveexec_b64 s[12:13], s[12:13]
	s_mov_b64 s[14:15], s[6:7]
	s_mov_b64 s[20:21], s[4:5]
                                        ; implicit-def: $vgpr9
	s_xor_b64 exec, exec, s[12:13]
	s_cbranch_execz .LBB68_209
; %bb.206:
	v_cmp_lt_i64_e32 vcc, 6, v[0:1]
	s_mov_b64 s[20:21], -1
	s_mov_b64 s[16:17], s[10:11]
	s_mov_b64 s[14:15], s[6:7]
	s_and_saveexec_b64 s[22:23], vcc
; %bb.207:
	v_cmp_lt_i64_e32 vcc, 7, v[0:1]
	s_andn2_b64 s[16:17], s[10:11], exec
	s_and_b64 s[24:25], vcc, exec
	s_xor_b64 s[20:21], exec, -1
	s_or_b64 s[14:15], s[6:7], exec
	s_or_b64 s[16:17], s[16:17], s[24:25]
; %bb.208:
	s_or_b64 exec, exec, s[22:23]
	s_andn2_b64 s[22:23], s[4:5], exec
	s_and_b64 s[20:21], s[20:21], exec
	s_or_b64 s[20:21], s[22:23], s[20:21]
	s_andn2_b64 s[22:23], s[6:7], exec
	s_and_b64 s[14:15], s[14:15], exec
	s_andn2_b64 s[10:11], s[10:11], exec
	s_and_b64 s[16:17], s[16:17], exec
	s_or_b64 s[14:15], s[22:23], s[14:15]
	s_or_b64 s[10:11], s[10:11], s[16:17]
	s_waitcnt lgkmcnt(0)
	v_mov_b32_e32 v9, v16
	v_mov_b32_e32 v11, v17
	v_mov_b32_e32 v10, v14
.LBB68_209:
	s_or_b64 exec, exec, s[12:13]
	s_andn2_b64 s[16:17], s[4:5], exec
	s_and_b64 s[20:21], s[20:21], exec
	s_or_b64 s[16:17], s[16:17], s[20:21]
	s_andn2_b64 s[20:21], s[6:7], exec
	s_and_b64 s[14:15], s[14:15], exec
	s_or_b64 s[14:15], s[20:21], s[14:15]
	s_andn2_b64 s[20:21], s[8:9], exec
	s_and_b64 s[10:11], s[10:11], exec
	s_xor_b64 s[12:13], exec, -1
	s_or_b64 s[10:11], s[20:21], s[10:11]
.LBB68_210:
	s_or_b64 exec, exec, s[0:1]
	s_and_b64 s[0:1], s[12:13], exec
	s_andn2_b64 s[4:5], s[4:5], exec
	s_and_b64 s[12:13], s[16:17], exec
	s_or_b64 s[4:5], s[4:5], s[12:13]
	s_andn2_b64 s[6:7], s[6:7], exec
	s_and_b64 s[12:13], s[14:15], exec
	s_andn2_b64 s[8:9], s[8:9], exec
	s_and_b64 s[10:11], s[10:11], exec
	s_or_b64 s[6:7], s[6:7], s[12:13]
	s_or_b64 s[8:9], s[8:9], s[10:11]
	s_or_b64 exec, exec, s[2:3]
	s_and_saveexec_b64 s[2:3], s[8:9]
	s_cbranch_execz .LBB68_147
.LBB68_211:
	s_waitcnt lgkmcnt(0)
	v_mov_b32_e32 v8, 0
	s_andn2_b64 s[6:7], s[6:7], exec
	global_store_dword v8, v10, s[18:19]
                                        ; implicit-def: $vgpr9
                                        ; implicit-def: $vgpr11
	s_or_b64 exec, exec, s[2:3]
	s_and_saveexec_b64 s[2:3], s[6:7]
	s_cbranch_execz .LBB68_148
.LBB68_212:
	s_waitcnt lgkmcnt(0)
	v_mov_b32_e32 v8, 0
	global_store_dword v8, v11, s[18:19]
                                        ; implicit-def: $vgpr9
	s_or_b64 exec, exec, s[2:3]
	s_and_saveexec_b64 s[2:3], s[4:5]
	s_xor_b64 s[2:3], exec, s[2:3]
	s_cbranch_execz .LBB68_149
.LBB68_213:
	s_waitcnt lgkmcnt(0)
	v_mov_b32_e32 v8, 0
	global_store_dword v8, v9, s[18:19]
	s_or_b64 exec, exec, s[2:3]
	s_and_b64 exec, exec, s[0:1]
	s_cbranch_execz .LBB68_150
.LBB68_214:
	v_cmp_lt_i64_e32 vcc, 2, v[0:1]
	s_and_saveexec_b64 s[0:1], vcc
	s_xor_b64 s[0:1], exec, s[0:1]
	s_cbranch_execz .LBB68_224
; %bb.215:
	v_cmp_lt_i64_e32 vcc, 3, v[0:1]
	s_and_saveexec_b64 s[2:3], vcc
	s_xor_b64 s[2:3], exec, s[2:3]
	s_cbranch_execz .LBB68_221
; %bb.216:
	;; [unrolled: 5-line block ×3, first 2 shown]
	v_mov_b32_e32 v0, 0
	s_waitcnt lgkmcnt(0)
	global_store_dword v0, v7, s[18:19]
                                        ; implicit-def: $vgpr6_vgpr7
.LBB68_218:
	s_andn2_saveexec_b64 s[4:5], s[4:5]
	s_cbranch_execz .LBB68_220
; %bb.219:
	v_mov_b32_e32 v0, 0
	s_waitcnt lgkmcnt(0)
	global_store_dword v0, v6, s[18:19]
.LBB68_220:
	s_or_b64 exec, exec, s[4:5]
                                        ; implicit-def: $vgpr4_vgpr5
.LBB68_221:
	s_andn2_saveexec_b64 s[2:3], s[2:3]
	s_cbranch_execz .LBB68_223
; %bb.222:
	v_mov_b32_e32 v0, 0
	s_waitcnt lgkmcnt(0)
	global_store_dword v0, v5, s[18:19]
.LBB68_223:
	s_or_b64 exec, exec, s[2:3]
                                        ; implicit-def: $vgpr0_vgpr1
                                        ; implicit-def: $vgpr4_vgpr5
                                        ; implicit-def: $vgpr2_vgpr3
.LBB68_224:
	s_andn2_saveexec_b64 s[0:1], s[0:1]
	s_cbranch_execz .LBB68_150
; %bb.225:
	v_cmp_lt_i64_e32 vcc, 1, v[0:1]
	s_and_saveexec_b64 s[0:1], vcc
	s_xor_b64 s[0:1], exec, s[0:1]
	s_cbranch_execz .LBB68_227
; %bb.226:
	v_mov_b32_e32 v0, 0
	s_waitcnt lgkmcnt(0)
	global_store_dword v0, v4, s[18:19]
                                        ; implicit-def: $vgpr2_vgpr3
                                        ; implicit-def: $vgpr0_vgpr1
.LBB68_227:
	s_andn2_saveexec_b64 s[0:1], s[0:1]
	s_cbranch_execz .LBB68_150
; %bb.228:
	v_cmp_ne_u64_e32 vcc, 1, v[0:1]
	s_and_saveexec_b64 s[0:1], vcc
	s_xor_b64 s[0:1], exec, s[0:1]
	s_cbranch_execz .LBB68_230
; %bb.229:
	v_mov_b32_e32 v0, 0
	s_waitcnt lgkmcnt(0)
	global_store_dword v0, v2, s[18:19]
                                        ; implicit-def: $vgpr2_vgpr3
.LBB68_230:
	s_andn2_saveexec_b64 s[0:1], s[0:1]
	s_cbranch_execz .LBB68_150
; %bb.231:
	v_mov_b32_e32 v0, 0
	s_waitcnt lgkmcnt(0)
	global_store_dword v0, v3, s[18:19]
	s_endpgm
	.section	.rodata,"a",@progbits
	.p2align	6, 0x0
	.amdhsa_kernel _ZN7rocprim17ROCPRIM_400000_NS6detail17trampoline_kernelINS0_14default_configENS1_20scan_config_selectorIfEEZZNS1_9scan_implILNS1_25lookback_scan_determinismE0ELb1ELb1ES3_N6thrust23THRUST_200600_302600_NS6detail15normal_iteratorINS9_10device_ptrIKfEEEENSB_INSC_IfEEEEfNS9_4plusIvEEfEEDaPvRmT3_T4_T5_mT6_P12ihipStream_tbENKUlT_T0_E_clISt17integral_constantIbLb0EESW_IbLb1EEEEDaSS_ST_EUlSS_E_NS1_11comp_targetILNS1_3genE5ELNS1_11target_archE942ELNS1_3gpuE9ELNS1_3repE0EEENS1_30default_config_static_selectorELNS0_4arch9wavefront6targetE1EEEvT1_
		.amdhsa_group_segment_fixed_size 24576
		.amdhsa_private_segment_fixed_size 0
		.amdhsa_kernarg_size 96
		.amdhsa_user_sgpr_count 2
		.amdhsa_user_sgpr_dispatch_ptr 0
		.amdhsa_user_sgpr_queue_ptr 0
		.amdhsa_user_sgpr_kernarg_segment_ptr 1
		.amdhsa_user_sgpr_dispatch_id 0
		.amdhsa_user_sgpr_kernarg_preload_length 0
		.amdhsa_user_sgpr_kernarg_preload_offset 0
		.amdhsa_user_sgpr_private_segment_size 0
		.amdhsa_uses_dynamic_stack 0
		.amdhsa_enable_private_segment 0
		.amdhsa_system_sgpr_workgroup_id_x 1
		.amdhsa_system_sgpr_workgroup_id_y 0
		.amdhsa_system_sgpr_workgroup_id_z 0
		.amdhsa_system_sgpr_workgroup_info 0
		.amdhsa_system_vgpr_workitem_id 0
		.amdhsa_next_free_vgpr 59
		.amdhsa_next_free_sgpr 41
		.amdhsa_accum_offset 60
		.amdhsa_reserve_vcc 1
		.amdhsa_float_round_mode_32 0
		.amdhsa_float_round_mode_16_64 0
		.amdhsa_float_denorm_mode_32 3
		.amdhsa_float_denorm_mode_16_64 3
		.amdhsa_dx10_clamp 1
		.amdhsa_ieee_mode 1
		.amdhsa_fp16_overflow 0
		.amdhsa_tg_split 0
		.amdhsa_exception_fp_ieee_invalid_op 0
		.amdhsa_exception_fp_denorm_src 0
		.amdhsa_exception_fp_ieee_div_zero 0
		.amdhsa_exception_fp_ieee_overflow 0
		.amdhsa_exception_fp_ieee_underflow 0
		.amdhsa_exception_fp_ieee_inexact 0
		.amdhsa_exception_int_div_zero 0
	.end_amdhsa_kernel
	.section	.text._ZN7rocprim17ROCPRIM_400000_NS6detail17trampoline_kernelINS0_14default_configENS1_20scan_config_selectorIfEEZZNS1_9scan_implILNS1_25lookback_scan_determinismE0ELb1ELb1ES3_N6thrust23THRUST_200600_302600_NS6detail15normal_iteratorINS9_10device_ptrIKfEEEENSB_INSC_IfEEEEfNS9_4plusIvEEfEEDaPvRmT3_T4_T5_mT6_P12ihipStream_tbENKUlT_T0_E_clISt17integral_constantIbLb0EESW_IbLb1EEEEDaSS_ST_EUlSS_E_NS1_11comp_targetILNS1_3genE5ELNS1_11target_archE942ELNS1_3gpuE9ELNS1_3repE0EEENS1_30default_config_static_selectorELNS0_4arch9wavefront6targetE1EEEvT1_,"axG",@progbits,_ZN7rocprim17ROCPRIM_400000_NS6detail17trampoline_kernelINS0_14default_configENS1_20scan_config_selectorIfEEZZNS1_9scan_implILNS1_25lookback_scan_determinismE0ELb1ELb1ES3_N6thrust23THRUST_200600_302600_NS6detail15normal_iteratorINS9_10device_ptrIKfEEEENSB_INSC_IfEEEEfNS9_4plusIvEEfEEDaPvRmT3_T4_T5_mT6_P12ihipStream_tbENKUlT_T0_E_clISt17integral_constantIbLb0EESW_IbLb1EEEEDaSS_ST_EUlSS_E_NS1_11comp_targetILNS1_3genE5ELNS1_11target_archE942ELNS1_3gpuE9ELNS1_3repE0EEENS1_30default_config_static_selectorELNS0_4arch9wavefront6targetE1EEEvT1_,comdat
.Lfunc_end68:
	.size	_ZN7rocprim17ROCPRIM_400000_NS6detail17trampoline_kernelINS0_14default_configENS1_20scan_config_selectorIfEEZZNS1_9scan_implILNS1_25lookback_scan_determinismE0ELb1ELb1ES3_N6thrust23THRUST_200600_302600_NS6detail15normal_iteratorINS9_10device_ptrIKfEEEENSB_INSC_IfEEEEfNS9_4plusIvEEfEEDaPvRmT3_T4_T5_mT6_P12ihipStream_tbENKUlT_T0_E_clISt17integral_constantIbLb0EESW_IbLb1EEEEDaSS_ST_EUlSS_E_NS1_11comp_targetILNS1_3genE5ELNS1_11target_archE942ELNS1_3gpuE9ELNS1_3repE0EEENS1_30default_config_static_selectorELNS0_4arch9wavefront6targetE1EEEvT1_, .Lfunc_end68-_ZN7rocprim17ROCPRIM_400000_NS6detail17trampoline_kernelINS0_14default_configENS1_20scan_config_selectorIfEEZZNS1_9scan_implILNS1_25lookback_scan_determinismE0ELb1ELb1ES3_N6thrust23THRUST_200600_302600_NS6detail15normal_iteratorINS9_10device_ptrIKfEEEENSB_INSC_IfEEEEfNS9_4plusIvEEfEEDaPvRmT3_T4_T5_mT6_P12ihipStream_tbENKUlT_T0_E_clISt17integral_constantIbLb0EESW_IbLb1EEEEDaSS_ST_EUlSS_E_NS1_11comp_targetILNS1_3genE5ELNS1_11target_archE942ELNS1_3gpuE9ELNS1_3repE0EEENS1_30default_config_static_selectorELNS0_4arch9wavefront6targetE1EEEvT1_
                                        ; -- End function
	.section	.AMDGPU.csdata,"",@progbits
; Kernel info:
; codeLenInByte = 8108
; NumSgprs: 47
; NumVgprs: 59
; NumAgprs: 0
; TotalNumVgprs: 59
; ScratchSize: 0
; MemoryBound: 0
; FloatMode: 240
; IeeeMode: 1
; LDSByteSize: 24576 bytes/workgroup (compile time only)
; SGPRBlocks: 5
; VGPRBlocks: 7
; NumSGPRsForWavesPerEU: 47
; NumVGPRsForWavesPerEU: 59
; AccumOffset: 60
; Occupancy: 2
; WaveLimiterHint : 1
; COMPUTE_PGM_RSRC2:SCRATCH_EN: 0
; COMPUTE_PGM_RSRC2:USER_SGPR: 2
; COMPUTE_PGM_RSRC2:TRAP_HANDLER: 0
; COMPUTE_PGM_RSRC2:TGID_X_EN: 1
; COMPUTE_PGM_RSRC2:TGID_Y_EN: 0
; COMPUTE_PGM_RSRC2:TGID_Z_EN: 0
; COMPUTE_PGM_RSRC2:TIDIG_COMP_CNT: 0
; COMPUTE_PGM_RSRC3_GFX90A:ACCUM_OFFSET: 14
; COMPUTE_PGM_RSRC3_GFX90A:TG_SPLIT: 0
	.section	.text._ZN7rocprim17ROCPRIM_400000_NS6detail17trampoline_kernelINS0_14default_configENS1_20scan_config_selectorIfEEZZNS1_9scan_implILNS1_25lookback_scan_determinismE0ELb1ELb1ES3_N6thrust23THRUST_200600_302600_NS6detail15normal_iteratorINS9_10device_ptrIKfEEEENSB_INSC_IfEEEEfNS9_4plusIvEEfEEDaPvRmT3_T4_T5_mT6_P12ihipStream_tbENKUlT_T0_E_clISt17integral_constantIbLb0EESW_IbLb1EEEEDaSS_ST_EUlSS_E_NS1_11comp_targetILNS1_3genE4ELNS1_11target_archE910ELNS1_3gpuE8ELNS1_3repE0EEENS1_30default_config_static_selectorELNS0_4arch9wavefront6targetE1EEEvT1_,"axG",@progbits,_ZN7rocprim17ROCPRIM_400000_NS6detail17trampoline_kernelINS0_14default_configENS1_20scan_config_selectorIfEEZZNS1_9scan_implILNS1_25lookback_scan_determinismE0ELb1ELb1ES3_N6thrust23THRUST_200600_302600_NS6detail15normal_iteratorINS9_10device_ptrIKfEEEENSB_INSC_IfEEEEfNS9_4plusIvEEfEEDaPvRmT3_T4_T5_mT6_P12ihipStream_tbENKUlT_T0_E_clISt17integral_constantIbLb0EESW_IbLb1EEEEDaSS_ST_EUlSS_E_NS1_11comp_targetILNS1_3genE4ELNS1_11target_archE910ELNS1_3gpuE8ELNS1_3repE0EEENS1_30default_config_static_selectorELNS0_4arch9wavefront6targetE1EEEvT1_,comdat
	.protected	_ZN7rocprim17ROCPRIM_400000_NS6detail17trampoline_kernelINS0_14default_configENS1_20scan_config_selectorIfEEZZNS1_9scan_implILNS1_25lookback_scan_determinismE0ELb1ELb1ES3_N6thrust23THRUST_200600_302600_NS6detail15normal_iteratorINS9_10device_ptrIKfEEEENSB_INSC_IfEEEEfNS9_4plusIvEEfEEDaPvRmT3_T4_T5_mT6_P12ihipStream_tbENKUlT_T0_E_clISt17integral_constantIbLb0EESW_IbLb1EEEEDaSS_ST_EUlSS_E_NS1_11comp_targetILNS1_3genE4ELNS1_11target_archE910ELNS1_3gpuE8ELNS1_3repE0EEENS1_30default_config_static_selectorELNS0_4arch9wavefront6targetE1EEEvT1_ ; -- Begin function _ZN7rocprim17ROCPRIM_400000_NS6detail17trampoline_kernelINS0_14default_configENS1_20scan_config_selectorIfEEZZNS1_9scan_implILNS1_25lookback_scan_determinismE0ELb1ELb1ES3_N6thrust23THRUST_200600_302600_NS6detail15normal_iteratorINS9_10device_ptrIKfEEEENSB_INSC_IfEEEEfNS9_4plusIvEEfEEDaPvRmT3_T4_T5_mT6_P12ihipStream_tbENKUlT_T0_E_clISt17integral_constantIbLb0EESW_IbLb1EEEEDaSS_ST_EUlSS_E_NS1_11comp_targetILNS1_3genE4ELNS1_11target_archE910ELNS1_3gpuE8ELNS1_3repE0EEENS1_30default_config_static_selectorELNS0_4arch9wavefront6targetE1EEEvT1_
	.globl	_ZN7rocprim17ROCPRIM_400000_NS6detail17trampoline_kernelINS0_14default_configENS1_20scan_config_selectorIfEEZZNS1_9scan_implILNS1_25lookback_scan_determinismE0ELb1ELb1ES3_N6thrust23THRUST_200600_302600_NS6detail15normal_iteratorINS9_10device_ptrIKfEEEENSB_INSC_IfEEEEfNS9_4plusIvEEfEEDaPvRmT3_T4_T5_mT6_P12ihipStream_tbENKUlT_T0_E_clISt17integral_constantIbLb0EESW_IbLb1EEEEDaSS_ST_EUlSS_E_NS1_11comp_targetILNS1_3genE4ELNS1_11target_archE910ELNS1_3gpuE8ELNS1_3repE0EEENS1_30default_config_static_selectorELNS0_4arch9wavefront6targetE1EEEvT1_
	.p2align	8
	.type	_ZN7rocprim17ROCPRIM_400000_NS6detail17trampoline_kernelINS0_14default_configENS1_20scan_config_selectorIfEEZZNS1_9scan_implILNS1_25lookback_scan_determinismE0ELb1ELb1ES3_N6thrust23THRUST_200600_302600_NS6detail15normal_iteratorINS9_10device_ptrIKfEEEENSB_INSC_IfEEEEfNS9_4plusIvEEfEEDaPvRmT3_T4_T5_mT6_P12ihipStream_tbENKUlT_T0_E_clISt17integral_constantIbLb0EESW_IbLb1EEEEDaSS_ST_EUlSS_E_NS1_11comp_targetILNS1_3genE4ELNS1_11target_archE910ELNS1_3gpuE8ELNS1_3repE0EEENS1_30default_config_static_selectorELNS0_4arch9wavefront6targetE1EEEvT1_,@function
_ZN7rocprim17ROCPRIM_400000_NS6detail17trampoline_kernelINS0_14default_configENS1_20scan_config_selectorIfEEZZNS1_9scan_implILNS1_25lookback_scan_determinismE0ELb1ELb1ES3_N6thrust23THRUST_200600_302600_NS6detail15normal_iteratorINS9_10device_ptrIKfEEEENSB_INSC_IfEEEEfNS9_4plusIvEEfEEDaPvRmT3_T4_T5_mT6_P12ihipStream_tbENKUlT_T0_E_clISt17integral_constantIbLb0EESW_IbLb1EEEEDaSS_ST_EUlSS_E_NS1_11comp_targetILNS1_3genE4ELNS1_11target_archE910ELNS1_3gpuE8ELNS1_3repE0EEENS1_30default_config_static_selectorELNS0_4arch9wavefront6targetE1EEEvT1_: ; @_ZN7rocprim17ROCPRIM_400000_NS6detail17trampoline_kernelINS0_14default_configENS1_20scan_config_selectorIfEEZZNS1_9scan_implILNS1_25lookback_scan_determinismE0ELb1ELb1ES3_N6thrust23THRUST_200600_302600_NS6detail15normal_iteratorINS9_10device_ptrIKfEEEENSB_INSC_IfEEEEfNS9_4plusIvEEfEEDaPvRmT3_T4_T5_mT6_P12ihipStream_tbENKUlT_T0_E_clISt17integral_constantIbLb0EESW_IbLb1EEEEDaSS_ST_EUlSS_E_NS1_11comp_targetILNS1_3genE4ELNS1_11target_archE910ELNS1_3gpuE8ELNS1_3repE0EEENS1_30default_config_static_selectorELNS0_4arch9wavefront6targetE1EEEvT1_
; %bb.0:
	.section	.rodata,"a",@progbits
	.p2align	6, 0x0
	.amdhsa_kernel _ZN7rocprim17ROCPRIM_400000_NS6detail17trampoline_kernelINS0_14default_configENS1_20scan_config_selectorIfEEZZNS1_9scan_implILNS1_25lookback_scan_determinismE0ELb1ELb1ES3_N6thrust23THRUST_200600_302600_NS6detail15normal_iteratorINS9_10device_ptrIKfEEEENSB_INSC_IfEEEEfNS9_4plusIvEEfEEDaPvRmT3_T4_T5_mT6_P12ihipStream_tbENKUlT_T0_E_clISt17integral_constantIbLb0EESW_IbLb1EEEEDaSS_ST_EUlSS_E_NS1_11comp_targetILNS1_3genE4ELNS1_11target_archE910ELNS1_3gpuE8ELNS1_3repE0EEENS1_30default_config_static_selectorELNS0_4arch9wavefront6targetE1EEEvT1_
		.amdhsa_group_segment_fixed_size 0
		.amdhsa_private_segment_fixed_size 0
		.amdhsa_kernarg_size 96
		.amdhsa_user_sgpr_count 2
		.amdhsa_user_sgpr_dispatch_ptr 0
		.amdhsa_user_sgpr_queue_ptr 0
		.amdhsa_user_sgpr_kernarg_segment_ptr 1
		.amdhsa_user_sgpr_dispatch_id 0
		.amdhsa_user_sgpr_kernarg_preload_length 0
		.amdhsa_user_sgpr_kernarg_preload_offset 0
		.amdhsa_user_sgpr_private_segment_size 0
		.amdhsa_uses_dynamic_stack 0
		.amdhsa_enable_private_segment 0
		.amdhsa_system_sgpr_workgroup_id_x 1
		.amdhsa_system_sgpr_workgroup_id_y 0
		.amdhsa_system_sgpr_workgroup_id_z 0
		.amdhsa_system_sgpr_workgroup_info 0
		.amdhsa_system_vgpr_workitem_id 0
		.amdhsa_next_free_vgpr 1
		.amdhsa_next_free_sgpr 0
		.amdhsa_accum_offset 4
		.amdhsa_reserve_vcc 0
		.amdhsa_float_round_mode_32 0
		.amdhsa_float_round_mode_16_64 0
		.amdhsa_float_denorm_mode_32 3
		.amdhsa_float_denorm_mode_16_64 3
		.amdhsa_dx10_clamp 1
		.amdhsa_ieee_mode 1
		.amdhsa_fp16_overflow 0
		.amdhsa_tg_split 0
		.amdhsa_exception_fp_ieee_invalid_op 0
		.amdhsa_exception_fp_denorm_src 0
		.amdhsa_exception_fp_ieee_div_zero 0
		.amdhsa_exception_fp_ieee_overflow 0
		.amdhsa_exception_fp_ieee_underflow 0
		.amdhsa_exception_fp_ieee_inexact 0
		.amdhsa_exception_int_div_zero 0
	.end_amdhsa_kernel
	.section	.text._ZN7rocprim17ROCPRIM_400000_NS6detail17trampoline_kernelINS0_14default_configENS1_20scan_config_selectorIfEEZZNS1_9scan_implILNS1_25lookback_scan_determinismE0ELb1ELb1ES3_N6thrust23THRUST_200600_302600_NS6detail15normal_iteratorINS9_10device_ptrIKfEEEENSB_INSC_IfEEEEfNS9_4plusIvEEfEEDaPvRmT3_T4_T5_mT6_P12ihipStream_tbENKUlT_T0_E_clISt17integral_constantIbLb0EESW_IbLb1EEEEDaSS_ST_EUlSS_E_NS1_11comp_targetILNS1_3genE4ELNS1_11target_archE910ELNS1_3gpuE8ELNS1_3repE0EEENS1_30default_config_static_selectorELNS0_4arch9wavefront6targetE1EEEvT1_,"axG",@progbits,_ZN7rocprim17ROCPRIM_400000_NS6detail17trampoline_kernelINS0_14default_configENS1_20scan_config_selectorIfEEZZNS1_9scan_implILNS1_25lookback_scan_determinismE0ELb1ELb1ES3_N6thrust23THRUST_200600_302600_NS6detail15normal_iteratorINS9_10device_ptrIKfEEEENSB_INSC_IfEEEEfNS9_4plusIvEEfEEDaPvRmT3_T4_T5_mT6_P12ihipStream_tbENKUlT_T0_E_clISt17integral_constantIbLb0EESW_IbLb1EEEEDaSS_ST_EUlSS_E_NS1_11comp_targetILNS1_3genE4ELNS1_11target_archE910ELNS1_3gpuE8ELNS1_3repE0EEENS1_30default_config_static_selectorELNS0_4arch9wavefront6targetE1EEEvT1_,comdat
.Lfunc_end69:
	.size	_ZN7rocprim17ROCPRIM_400000_NS6detail17trampoline_kernelINS0_14default_configENS1_20scan_config_selectorIfEEZZNS1_9scan_implILNS1_25lookback_scan_determinismE0ELb1ELb1ES3_N6thrust23THRUST_200600_302600_NS6detail15normal_iteratorINS9_10device_ptrIKfEEEENSB_INSC_IfEEEEfNS9_4plusIvEEfEEDaPvRmT3_T4_T5_mT6_P12ihipStream_tbENKUlT_T0_E_clISt17integral_constantIbLb0EESW_IbLb1EEEEDaSS_ST_EUlSS_E_NS1_11comp_targetILNS1_3genE4ELNS1_11target_archE910ELNS1_3gpuE8ELNS1_3repE0EEENS1_30default_config_static_selectorELNS0_4arch9wavefront6targetE1EEEvT1_, .Lfunc_end69-_ZN7rocprim17ROCPRIM_400000_NS6detail17trampoline_kernelINS0_14default_configENS1_20scan_config_selectorIfEEZZNS1_9scan_implILNS1_25lookback_scan_determinismE0ELb1ELb1ES3_N6thrust23THRUST_200600_302600_NS6detail15normal_iteratorINS9_10device_ptrIKfEEEENSB_INSC_IfEEEEfNS9_4plusIvEEfEEDaPvRmT3_T4_T5_mT6_P12ihipStream_tbENKUlT_T0_E_clISt17integral_constantIbLb0EESW_IbLb1EEEEDaSS_ST_EUlSS_E_NS1_11comp_targetILNS1_3genE4ELNS1_11target_archE910ELNS1_3gpuE8ELNS1_3repE0EEENS1_30default_config_static_selectorELNS0_4arch9wavefront6targetE1EEEvT1_
                                        ; -- End function
	.section	.AMDGPU.csdata,"",@progbits
; Kernel info:
; codeLenInByte = 0
; NumSgprs: 6
; NumVgprs: 0
; NumAgprs: 0
; TotalNumVgprs: 0
; ScratchSize: 0
; MemoryBound: 0
; FloatMode: 240
; IeeeMode: 1
; LDSByteSize: 0 bytes/workgroup (compile time only)
; SGPRBlocks: 0
; VGPRBlocks: 0
; NumSGPRsForWavesPerEU: 6
; NumVGPRsForWavesPerEU: 1
; AccumOffset: 4
; Occupancy: 8
; WaveLimiterHint : 0
; COMPUTE_PGM_RSRC2:SCRATCH_EN: 0
; COMPUTE_PGM_RSRC2:USER_SGPR: 2
; COMPUTE_PGM_RSRC2:TRAP_HANDLER: 0
; COMPUTE_PGM_RSRC2:TGID_X_EN: 1
; COMPUTE_PGM_RSRC2:TGID_Y_EN: 0
; COMPUTE_PGM_RSRC2:TGID_Z_EN: 0
; COMPUTE_PGM_RSRC2:TIDIG_COMP_CNT: 0
; COMPUTE_PGM_RSRC3_GFX90A:ACCUM_OFFSET: 0
; COMPUTE_PGM_RSRC3_GFX90A:TG_SPLIT: 0
	.section	.text._ZN7rocprim17ROCPRIM_400000_NS6detail17trampoline_kernelINS0_14default_configENS1_20scan_config_selectorIfEEZZNS1_9scan_implILNS1_25lookback_scan_determinismE0ELb1ELb1ES3_N6thrust23THRUST_200600_302600_NS6detail15normal_iteratorINS9_10device_ptrIKfEEEENSB_INSC_IfEEEEfNS9_4plusIvEEfEEDaPvRmT3_T4_T5_mT6_P12ihipStream_tbENKUlT_T0_E_clISt17integral_constantIbLb0EESW_IbLb1EEEEDaSS_ST_EUlSS_E_NS1_11comp_targetILNS1_3genE3ELNS1_11target_archE908ELNS1_3gpuE7ELNS1_3repE0EEENS1_30default_config_static_selectorELNS0_4arch9wavefront6targetE1EEEvT1_,"axG",@progbits,_ZN7rocprim17ROCPRIM_400000_NS6detail17trampoline_kernelINS0_14default_configENS1_20scan_config_selectorIfEEZZNS1_9scan_implILNS1_25lookback_scan_determinismE0ELb1ELb1ES3_N6thrust23THRUST_200600_302600_NS6detail15normal_iteratorINS9_10device_ptrIKfEEEENSB_INSC_IfEEEEfNS9_4plusIvEEfEEDaPvRmT3_T4_T5_mT6_P12ihipStream_tbENKUlT_T0_E_clISt17integral_constantIbLb0EESW_IbLb1EEEEDaSS_ST_EUlSS_E_NS1_11comp_targetILNS1_3genE3ELNS1_11target_archE908ELNS1_3gpuE7ELNS1_3repE0EEENS1_30default_config_static_selectorELNS0_4arch9wavefront6targetE1EEEvT1_,comdat
	.protected	_ZN7rocprim17ROCPRIM_400000_NS6detail17trampoline_kernelINS0_14default_configENS1_20scan_config_selectorIfEEZZNS1_9scan_implILNS1_25lookback_scan_determinismE0ELb1ELb1ES3_N6thrust23THRUST_200600_302600_NS6detail15normal_iteratorINS9_10device_ptrIKfEEEENSB_INSC_IfEEEEfNS9_4plusIvEEfEEDaPvRmT3_T4_T5_mT6_P12ihipStream_tbENKUlT_T0_E_clISt17integral_constantIbLb0EESW_IbLb1EEEEDaSS_ST_EUlSS_E_NS1_11comp_targetILNS1_3genE3ELNS1_11target_archE908ELNS1_3gpuE7ELNS1_3repE0EEENS1_30default_config_static_selectorELNS0_4arch9wavefront6targetE1EEEvT1_ ; -- Begin function _ZN7rocprim17ROCPRIM_400000_NS6detail17trampoline_kernelINS0_14default_configENS1_20scan_config_selectorIfEEZZNS1_9scan_implILNS1_25lookback_scan_determinismE0ELb1ELb1ES3_N6thrust23THRUST_200600_302600_NS6detail15normal_iteratorINS9_10device_ptrIKfEEEENSB_INSC_IfEEEEfNS9_4plusIvEEfEEDaPvRmT3_T4_T5_mT6_P12ihipStream_tbENKUlT_T0_E_clISt17integral_constantIbLb0EESW_IbLb1EEEEDaSS_ST_EUlSS_E_NS1_11comp_targetILNS1_3genE3ELNS1_11target_archE908ELNS1_3gpuE7ELNS1_3repE0EEENS1_30default_config_static_selectorELNS0_4arch9wavefront6targetE1EEEvT1_
	.globl	_ZN7rocprim17ROCPRIM_400000_NS6detail17trampoline_kernelINS0_14default_configENS1_20scan_config_selectorIfEEZZNS1_9scan_implILNS1_25lookback_scan_determinismE0ELb1ELb1ES3_N6thrust23THRUST_200600_302600_NS6detail15normal_iteratorINS9_10device_ptrIKfEEEENSB_INSC_IfEEEEfNS9_4plusIvEEfEEDaPvRmT3_T4_T5_mT6_P12ihipStream_tbENKUlT_T0_E_clISt17integral_constantIbLb0EESW_IbLb1EEEEDaSS_ST_EUlSS_E_NS1_11comp_targetILNS1_3genE3ELNS1_11target_archE908ELNS1_3gpuE7ELNS1_3repE0EEENS1_30default_config_static_selectorELNS0_4arch9wavefront6targetE1EEEvT1_
	.p2align	8
	.type	_ZN7rocprim17ROCPRIM_400000_NS6detail17trampoline_kernelINS0_14default_configENS1_20scan_config_selectorIfEEZZNS1_9scan_implILNS1_25lookback_scan_determinismE0ELb1ELb1ES3_N6thrust23THRUST_200600_302600_NS6detail15normal_iteratorINS9_10device_ptrIKfEEEENSB_INSC_IfEEEEfNS9_4plusIvEEfEEDaPvRmT3_T4_T5_mT6_P12ihipStream_tbENKUlT_T0_E_clISt17integral_constantIbLb0EESW_IbLb1EEEEDaSS_ST_EUlSS_E_NS1_11comp_targetILNS1_3genE3ELNS1_11target_archE908ELNS1_3gpuE7ELNS1_3repE0EEENS1_30default_config_static_selectorELNS0_4arch9wavefront6targetE1EEEvT1_,@function
_ZN7rocprim17ROCPRIM_400000_NS6detail17trampoline_kernelINS0_14default_configENS1_20scan_config_selectorIfEEZZNS1_9scan_implILNS1_25lookback_scan_determinismE0ELb1ELb1ES3_N6thrust23THRUST_200600_302600_NS6detail15normal_iteratorINS9_10device_ptrIKfEEEENSB_INSC_IfEEEEfNS9_4plusIvEEfEEDaPvRmT3_T4_T5_mT6_P12ihipStream_tbENKUlT_T0_E_clISt17integral_constantIbLb0EESW_IbLb1EEEEDaSS_ST_EUlSS_E_NS1_11comp_targetILNS1_3genE3ELNS1_11target_archE908ELNS1_3gpuE7ELNS1_3repE0EEENS1_30default_config_static_selectorELNS0_4arch9wavefront6targetE1EEEvT1_: ; @_ZN7rocprim17ROCPRIM_400000_NS6detail17trampoline_kernelINS0_14default_configENS1_20scan_config_selectorIfEEZZNS1_9scan_implILNS1_25lookback_scan_determinismE0ELb1ELb1ES3_N6thrust23THRUST_200600_302600_NS6detail15normal_iteratorINS9_10device_ptrIKfEEEENSB_INSC_IfEEEEfNS9_4plusIvEEfEEDaPvRmT3_T4_T5_mT6_P12ihipStream_tbENKUlT_T0_E_clISt17integral_constantIbLb0EESW_IbLb1EEEEDaSS_ST_EUlSS_E_NS1_11comp_targetILNS1_3genE3ELNS1_11target_archE908ELNS1_3gpuE7ELNS1_3repE0EEENS1_30default_config_static_selectorELNS0_4arch9wavefront6targetE1EEEvT1_
; %bb.0:
	.section	.rodata,"a",@progbits
	.p2align	6, 0x0
	.amdhsa_kernel _ZN7rocprim17ROCPRIM_400000_NS6detail17trampoline_kernelINS0_14default_configENS1_20scan_config_selectorIfEEZZNS1_9scan_implILNS1_25lookback_scan_determinismE0ELb1ELb1ES3_N6thrust23THRUST_200600_302600_NS6detail15normal_iteratorINS9_10device_ptrIKfEEEENSB_INSC_IfEEEEfNS9_4plusIvEEfEEDaPvRmT3_T4_T5_mT6_P12ihipStream_tbENKUlT_T0_E_clISt17integral_constantIbLb0EESW_IbLb1EEEEDaSS_ST_EUlSS_E_NS1_11comp_targetILNS1_3genE3ELNS1_11target_archE908ELNS1_3gpuE7ELNS1_3repE0EEENS1_30default_config_static_selectorELNS0_4arch9wavefront6targetE1EEEvT1_
		.amdhsa_group_segment_fixed_size 0
		.amdhsa_private_segment_fixed_size 0
		.amdhsa_kernarg_size 96
		.amdhsa_user_sgpr_count 2
		.amdhsa_user_sgpr_dispatch_ptr 0
		.amdhsa_user_sgpr_queue_ptr 0
		.amdhsa_user_sgpr_kernarg_segment_ptr 1
		.amdhsa_user_sgpr_dispatch_id 0
		.amdhsa_user_sgpr_kernarg_preload_length 0
		.amdhsa_user_sgpr_kernarg_preload_offset 0
		.amdhsa_user_sgpr_private_segment_size 0
		.amdhsa_uses_dynamic_stack 0
		.amdhsa_enable_private_segment 0
		.amdhsa_system_sgpr_workgroup_id_x 1
		.amdhsa_system_sgpr_workgroup_id_y 0
		.amdhsa_system_sgpr_workgroup_id_z 0
		.amdhsa_system_sgpr_workgroup_info 0
		.amdhsa_system_vgpr_workitem_id 0
		.amdhsa_next_free_vgpr 1
		.amdhsa_next_free_sgpr 0
		.amdhsa_accum_offset 4
		.amdhsa_reserve_vcc 0
		.amdhsa_float_round_mode_32 0
		.amdhsa_float_round_mode_16_64 0
		.amdhsa_float_denorm_mode_32 3
		.amdhsa_float_denorm_mode_16_64 3
		.amdhsa_dx10_clamp 1
		.amdhsa_ieee_mode 1
		.amdhsa_fp16_overflow 0
		.amdhsa_tg_split 0
		.amdhsa_exception_fp_ieee_invalid_op 0
		.amdhsa_exception_fp_denorm_src 0
		.amdhsa_exception_fp_ieee_div_zero 0
		.amdhsa_exception_fp_ieee_overflow 0
		.amdhsa_exception_fp_ieee_underflow 0
		.amdhsa_exception_fp_ieee_inexact 0
		.amdhsa_exception_int_div_zero 0
	.end_amdhsa_kernel
	.section	.text._ZN7rocprim17ROCPRIM_400000_NS6detail17trampoline_kernelINS0_14default_configENS1_20scan_config_selectorIfEEZZNS1_9scan_implILNS1_25lookback_scan_determinismE0ELb1ELb1ES3_N6thrust23THRUST_200600_302600_NS6detail15normal_iteratorINS9_10device_ptrIKfEEEENSB_INSC_IfEEEEfNS9_4plusIvEEfEEDaPvRmT3_T4_T5_mT6_P12ihipStream_tbENKUlT_T0_E_clISt17integral_constantIbLb0EESW_IbLb1EEEEDaSS_ST_EUlSS_E_NS1_11comp_targetILNS1_3genE3ELNS1_11target_archE908ELNS1_3gpuE7ELNS1_3repE0EEENS1_30default_config_static_selectorELNS0_4arch9wavefront6targetE1EEEvT1_,"axG",@progbits,_ZN7rocprim17ROCPRIM_400000_NS6detail17trampoline_kernelINS0_14default_configENS1_20scan_config_selectorIfEEZZNS1_9scan_implILNS1_25lookback_scan_determinismE0ELb1ELb1ES3_N6thrust23THRUST_200600_302600_NS6detail15normal_iteratorINS9_10device_ptrIKfEEEENSB_INSC_IfEEEEfNS9_4plusIvEEfEEDaPvRmT3_T4_T5_mT6_P12ihipStream_tbENKUlT_T0_E_clISt17integral_constantIbLb0EESW_IbLb1EEEEDaSS_ST_EUlSS_E_NS1_11comp_targetILNS1_3genE3ELNS1_11target_archE908ELNS1_3gpuE7ELNS1_3repE0EEENS1_30default_config_static_selectorELNS0_4arch9wavefront6targetE1EEEvT1_,comdat
.Lfunc_end70:
	.size	_ZN7rocprim17ROCPRIM_400000_NS6detail17trampoline_kernelINS0_14default_configENS1_20scan_config_selectorIfEEZZNS1_9scan_implILNS1_25lookback_scan_determinismE0ELb1ELb1ES3_N6thrust23THRUST_200600_302600_NS6detail15normal_iteratorINS9_10device_ptrIKfEEEENSB_INSC_IfEEEEfNS9_4plusIvEEfEEDaPvRmT3_T4_T5_mT6_P12ihipStream_tbENKUlT_T0_E_clISt17integral_constantIbLb0EESW_IbLb1EEEEDaSS_ST_EUlSS_E_NS1_11comp_targetILNS1_3genE3ELNS1_11target_archE908ELNS1_3gpuE7ELNS1_3repE0EEENS1_30default_config_static_selectorELNS0_4arch9wavefront6targetE1EEEvT1_, .Lfunc_end70-_ZN7rocprim17ROCPRIM_400000_NS6detail17trampoline_kernelINS0_14default_configENS1_20scan_config_selectorIfEEZZNS1_9scan_implILNS1_25lookback_scan_determinismE0ELb1ELb1ES3_N6thrust23THRUST_200600_302600_NS6detail15normal_iteratorINS9_10device_ptrIKfEEEENSB_INSC_IfEEEEfNS9_4plusIvEEfEEDaPvRmT3_T4_T5_mT6_P12ihipStream_tbENKUlT_T0_E_clISt17integral_constantIbLb0EESW_IbLb1EEEEDaSS_ST_EUlSS_E_NS1_11comp_targetILNS1_3genE3ELNS1_11target_archE908ELNS1_3gpuE7ELNS1_3repE0EEENS1_30default_config_static_selectorELNS0_4arch9wavefront6targetE1EEEvT1_
                                        ; -- End function
	.section	.AMDGPU.csdata,"",@progbits
; Kernel info:
; codeLenInByte = 0
; NumSgprs: 6
; NumVgprs: 0
; NumAgprs: 0
; TotalNumVgprs: 0
; ScratchSize: 0
; MemoryBound: 0
; FloatMode: 240
; IeeeMode: 1
; LDSByteSize: 0 bytes/workgroup (compile time only)
; SGPRBlocks: 0
; VGPRBlocks: 0
; NumSGPRsForWavesPerEU: 6
; NumVGPRsForWavesPerEU: 1
; AccumOffset: 4
; Occupancy: 8
; WaveLimiterHint : 0
; COMPUTE_PGM_RSRC2:SCRATCH_EN: 0
; COMPUTE_PGM_RSRC2:USER_SGPR: 2
; COMPUTE_PGM_RSRC2:TRAP_HANDLER: 0
; COMPUTE_PGM_RSRC2:TGID_X_EN: 1
; COMPUTE_PGM_RSRC2:TGID_Y_EN: 0
; COMPUTE_PGM_RSRC2:TGID_Z_EN: 0
; COMPUTE_PGM_RSRC2:TIDIG_COMP_CNT: 0
; COMPUTE_PGM_RSRC3_GFX90A:ACCUM_OFFSET: 0
; COMPUTE_PGM_RSRC3_GFX90A:TG_SPLIT: 0
	.section	.text._ZN7rocprim17ROCPRIM_400000_NS6detail17trampoline_kernelINS0_14default_configENS1_20scan_config_selectorIfEEZZNS1_9scan_implILNS1_25lookback_scan_determinismE0ELb1ELb1ES3_N6thrust23THRUST_200600_302600_NS6detail15normal_iteratorINS9_10device_ptrIKfEEEENSB_INSC_IfEEEEfNS9_4plusIvEEfEEDaPvRmT3_T4_T5_mT6_P12ihipStream_tbENKUlT_T0_E_clISt17integral_constantIbLb0EESW_IbLb1EEEEDaSS_ST_EUlSS_E_NS1_11comp_targetILNS1_3genE2ELNS1_11target_archE906ELNS1_3gpuE6ELNS1_3repE0EEENS1_30default_config_static_selectorELNS0_4arch9wavefront6targetE1EEEvT1_,"axG",@progbits,_ZN7rocprim17ROCPRIM_400000_NS6detail17trampoline_kernelINS0_14default_configENS1_20scan_config_selectorIfEEZZNS1_9scan_implILNS1_25lookback_scan_determinismE0ELb1ELb1ES3_N6thrust23THRUST_200600_302600_NS6detail15normal_iteratorINS9_10device_ptrIKfEEEENSB_INSC_IfEEEEfNS9_4plusIvEEfEEDaPvRmT3_T4_T5_mT6_P12ihipStream_tbENKUlT_T0_E_clISt17integral_constantIbLb0EESW_IbLb1EEEEDaSS_ST_EUlSS_E_NS1_11comp_targetILNS1_3genE2ELNS1_11target_archE906ELNS1_3gpuE6ELNS1_3repE0EEENS1_30default_config_static_selectorELNS0_4arch9wavefront6targetE1EEEvT1_,comdat
	.protected	_ZN7rocprim17ROCPRIM_400000_NS6detail17trampoline_kernelINS0_14default_configENS1_20scan_config_selectorIfEEZZNS1_9scan_implILNS1_25lookback_scan_determinismE0ELb1ELb1ES3_N6thrust23THRUST_200600_302600_NS6detail15normal_iteratorINS9_10device_ptrIKfEEEENSB_INSC_IfEEEEfNS9_4plusIvEEfEEDaPvRmT3_T4_T5_mT6_P12ihipStream_tbENKUlT_T0_E_clISt17integral_constantIbLb0EESW_IbLb1EEEEDaSS_ST_EUlSS_E_NS1_11comp_targetILNS1_3genE2ELNS1_11target_archE906ELNS1_3gpuE6ELNS1_3repE0EEENS1_30default_config_static_selectorELNS0_4arch9wavefront6targetE1EEEvT1_ ; -- Begin function _ZN7rocprim17ROCPRIM_400000_NS6detail17trampoline_kernelINS0_14default_configENS1_20scan_config_selectorIfEEZZNS1_9scan_implILNS1_25lookback_scan_determinismE0ELb1ELb1ES3_N6thrust23THRUST_200600_302600_NS6detail15normal_iteratorINS9_10device_ptrIKfEEEENSB_INSC_IfEEEEfNS9_4plusIvEEfEEDaPvRmT3_T4_T5_mT6_P12ihipStream_tbENKUlT_T0_E_clISt17integral_constantIbLb0EESW_IbLb1EEEEDaSS_ST_EUlSS_E_NS1_11comp_targetILNS1_3genE2ELNS1_11target_archE906ELNS1_3gpuE6ELNS1_3repE0EEENS1_30default_config_static_selectorELNS0_4arch9wavefront6targetE1EEEvT1_
	.globl	_ZN7rocprim17ROCPRIM_400000_NS6detail17trampoline_kernelINS0_14default_configENS1_20scan_config_selectorIfEEZZNS1_9scan_implILNS1_25lookback_scan_determinismE0ELb1ELb1ES3_N6thrust23THRUST_200600_302600_NS6detail15normal_iteratorINS9_10device_ptrIKfEEEENSB_INSC_IfEEEEfNS9_4plusIvEEfEEDaPvRmT3_T4_T5_mT6_P12ihipStream_tbENKUlT_T0_E_clISt17integral_constantIbLb0EESW_IbLb1EEEEDaSS_ST_EUlSS_E_NS1_11comp_targetILNS1_3genE2ELNS1_11target_archE906ELNS1_3gpuE6ELNS1_3repE0EEENS1_30default_config_static_selectorELNS0_4arch9wavefront6targetE1EEEvT1_
	.p2align	8
	.type	_ZN7rocprim17ROCPRIM_400000_NS6detail17trampoline_kernelINS0_14default_configENS1_20scan_config_selectorIfEEZZNS1_9scan_implILNS1_25lookback_scan_determinismE0ELb1ELb1ES3_N6thrust23THRUST_200600_302600_NS6detail15normal_iteratorINS9_10device_ptrIKfEEEENSB_INSC_IfEEEEfNS9_4plusIvEEfEEDaPvRmT3_T4_T5_mT6_P12ihipStream_tbENKUlT_T0_E_clISt17integral_constantIbLb0EESW_IbLb1EEEEDaSS_ST_EUlSS_E_NS1_11comp_targetILNS1_3genE2ELNS1_11target_archE906ELNS1_3gpuE6ELNS1_3repE0EEENS1_30default_config_static_selectorELNS0_4arch9wavefront6targetE1EEEvT1_,@function
_ZN7rocprim17ROCPRIM_400000_NS6detail17trampoline_kernelINS0_14default_configENS1_20scan_config_selectorIfEEZZNS1_9scan_implILNS1_25lookback_scan_determinismE0ELb1ELb1ES3_N6thrust23THRUST_200600_302600_NS6detail15normal_iteratorINS9_10device_ptrIKfEEEENSB_INSC_IfEEEEfNS9_4plusIvEEfEEDaPvRmT3_T4_T5_mT6_P12ihipStream_tbENKUlT_T0_E_clISt17integral_constantIbLb0EESW_IbLb1EEEEDaSS_ST_EUlSS_E_NS1_11comp_targetILNS1_3genE2ELNS1_11target_archE906ELNS1_3gpuE6ELNS1_3repE0EEENS1_30default_config_static_selectorELNS0_4arch9wavefront6targetE1EEEvT1_: ; @_ZN7rocprim17ROCPRIM_400000_NS6detail17trampoline_kernelINS0_14default_configENS1_20scan_config_selectorIfEEZZNS1_9scan_implILNS1_25lookback_scan_determinismE0ELb1ELb1ES3_N6thrust23THRUST_200600_302600_NS6detail15normal_iteratorINS9_10device_ptrIKfEEEENSB_INSC_IfEEEEfNS9_4plusIvEEfEEDaPvRmT3_T4_T5_mT6_P12ihipStream_tbENKUlT_T0_E_clISt17integral_constantIbLb0EESW_IbLb1EEEEDaSS_ST_EUlSS_E_NS1_11comp_targetILNS1_3genE2ELNS1_11target_archE906ELNS1_3gpuE6ELNS1_3repE0EEENS1_30default_config_static_selectorELNS0_4arch9wavefront6targetE1EEEvT1_
; %bb.0:
	.section	.rodata,"a",@progbits
	.p2align	6, 0x0
	.amdhsa_kernel _ZN7rocprim17ROCPRIM_400000_NS6detail17trampoline_kernelINS0_14default_configENS1_20scan_config_selectorIfEEZZNS1_9scan_implILNS1_25lookback_scan_determinismE0ELb1ELb1ES3_N6thrust23THRUST_200600_302600_NS6detail15normal_iteratorINS9_10device_ptrIKfEEEENSB_INSC_IfEEEEfNS9_4plusIvEEfEEDaPvRmT3_T4_T5_mT6_P12ihipStream_tbENKUlT_T0_E_clISt17integral_constantIbLb0EESW_IbLb1EEEEDaSS_ST_EUlSS_E_NS1_11comp_targetILNS1_3genE2ELNS1_11target_archE906ELNS1_3gpuE6ELNS1_3repE0EEENS1_30default_config_static_selectorELNS0_4arch9wavefront6targetE1EEEvT1_
		.amdhsa_group_segment_fixed_size 0
		.amdhsa_private_segment_fixed_size 0
		.amdhsa_kernarg_size 96
		.amdhsa_user_sgpr_count 2
		.amdhsa_user_sgpr_dispatch_ptr 0
		.amdhsa_user_sgpr_queue_ptr 0
		.amdhsa_user_sgpr_kernarg_segment_ptr 1
		.amdhsa_user_sgpr_dispatch_id 0
		.amdhsa_user_sgpr_kernarg_preload_length 0
		.amdhsa_user_sgpr_kernarg_preload_offset 0
		.amdhsa_user_sgpr_private_segment_size 0
		.amdhsa_uses_dynamic_stack 0
		.amdhsa_enable_private_segment 0
		.amdhsa_system_sgpr_workgroup_id_x 1
		.amdhsa_system_sgpr_workgroup_id_y 0
		.amdhsa_system_sgpr_workgroup_id_z 0
		.amdhsa_system_sgpr_workgroup_info 0
		.amdhsa_system_vgpr_workitem_id 0
		.amdhsa_next_free_vgpr 1
		.amdhsa_next_free_sgpr 0
		.amdhsa_accum_offset 4
		.amdhsa_reserve_vcc 0
		.amdhsa_float_round_mode_32 0
		.amdhsa_float_round_mode_16_64 0
		.amdhsa_float_denorm_mode_32 3
		.amdhsa_float_denorm_mode_16_64 3
		.amdhsa_dx10_clamp 1
		.amdhsa_ieee_mode 1
		.amdhsa_fp16_overflow 0
		.amdhsa_tg_split 0
		.amdhsa_exception_fp_ieee_invalid_op 0
		.amdhsa_exception_fp_denorm_src 0
		.amdhsa_exception_fp_ieee_div_zero 0
		.amdhsa_exception_fp_ieee_overflow 0
		.amdhsa_exception_fp_ieee_underflow 0
		.amdhsa_exception_fp_ieee_inexact 0
		.amdhsa_exception_int_div_zero 0
	.end_amdhsa_kernel
	.section	.text._ZN7rocprim17ROCPRIM_400000_NS6detail17trampoline_kernelINS0_14default_configENS1_20scan_config_selectorIfEEZZNS1_9scan_implILNS1_25lookback_scan_determinismE0ELb1ELb1ES3_N6thrust23THRUST_200600_302600_NS6detail15normal_iteratorINS9_10device_ptrIKfEEEENSB_INSC_IfEEEEfNS9_4plusIvEEfEEDaPvRmT3_T4_T5_mT6_P12ihipStream_tbENKUlT_T0_E_clISt17integral_constantIbLb0EESW_IbLb1EEEEDaSS_ST_EUlSS_E_NS1_11comp_targetILNS1_3genE2ELNS1_11target_archE906ELNS1_3gpuE6ELNS1_3repE0EEENS1_30default_config_static_selectorELNS0_4arch9wavefront6targetE1EEEvT1_,"axG",@progbits,_ZN7rocprim17ROCPRIM_400000_NS6detail17trampoline_kernelINS0_14default_configENS1_20scan_config_selectorIfEEZZNS1_9scan_implILNS1_25lookback_scan_determinismE0ELb1ELb1ES3_N6thrust23THRUST_200600_302600_NS6detail15normal_iteratorINS9_10device_ptrIKfEEEENSB_INSC_IfEEEEfNS9_4plusIvEEfEEDaPvRmT3_T4_T5_mT6_P12ihipStream_tbENKUlT_T0_E_clISt17integral_constantIbLb0EESW_IbLb1EEEEDaSS_ST_EUlSS_E_NS1_11comp_targetILNS1_3genE2ELNS1_11target_archE906ELNS1_3gpuE6ELNS1_3repE0EEENS1_30default_config_static_selectorELNS0_4arch9wavefront6targetE1EEEvT1_,comdat
.Lfunc_end71:
	.size	_ZN7rocprim17ROCPRIM_400000_NS6detail17trampoline_kernelINS0_14default_configENS1_20scan_config_selectorIfEEZZNS1_9scan_implILNS1_25lookback_scan_determinismE0ELb1ELb1ES3_N6thrust23THRUST_200600_302600_NS6detail15normal_iteratorINS9_10device_ptrIKfEEEENSB_INSC_IfEEEEfNS9_4plusIvEEfEEDaPvRmT3_T4_T5_mT6_P12ihipStream_tbENKUlT_T0_E_clISt17integral_constantIbLb0EESW_IbLb1EEEEDaSS_ST_EUlSS_E_NS1_11comp_targetILNS1_3genE2ELNS1_11target_archE906ELNS1_3gpuE6ELNS1_3repE0EEENS1_30default_config_static_selectorELNS0_4arch9wavefront6targetE1EEEvT1_, .Lfunc_end71-_ZN7rocprim17ROCPRIM_400000_NS6detail17trampoline_kernelINS0_14default_configENS1_20scan_config_selectorIfEEZZNS1_9scan_implILNS1_25lookback_scan_determinismE0ELb1ELb1ES3_N6thrust23THRUST_200600_302600_NS6detail15normal_iteratorINS9_10device_ptrIKfEEEENSB_INSC_IfEEEEfNS9_4plusIvEEfEEDaPvRmT3_T4_T5_mT6_P12ihipStream_tbENKUlT_T0_E_clISt17integral_constantIbLb0EESW_IbLb1EEEEDaSS_ST_EUlSS_E_NS1_11comp_targetILNS1_3genE2ELNS1_11target_archE906ELNS1_3gpuE6ELNS1_3repE0EEENS1_30default_config_static_selectorELNS0_4arch9wavefront6targetE1EEEvT1_
                                        ; -- End function
	.section	.AMDGPU.csdata,"",@progbits
; Kernel info:
; codeLenInByte = 0
; NumSgprs: 6
; NumVgprs: 0
; NumAgprs: 0
; TotalNumVgprs: 0
; ScratchSize: 0
; MemoryBound: 0
; FloatMode: 240
; IeeeMode: 1
; LDSByteSize: 0 bytes/workgroup (compile time only)
; SGPRBlocks: 0
; VGPRBlocks: 0
; NumSGPRsForWavesPerEU: 6
; NumVGPRsForWavesPerEU: 1
; AccumOffset: 4
; Occupancy: 8
; WaveLimiterHint : 0
; COMPUTE_PGM_RSRC2:SCRATCH_EN: 0
; COMPUTE_PGM_RSRC2:USER_SGPR: 2
; COMPUTE_PGM_RSRC2:TRAP_HANDLER: 0
; COMPUTE_PGM_RSRC2:TGID_X_EN: 1
; COMPUTE_PGM_RSRC2:TGID_Y_EN: 0
; COMPUTE_PGM_RSRC2:TGID_Z_EN: 0
; COMPUTE_PGM_RSRC2:TIDIG_COMP_CNT: 0
; COMPUTE_PGM_RSRC3_GFX90A:ACCUM_OFFSET: 0
; COMPUTE_PGM_RSRC3_GFX90A:TG_SPLIT: 0
	.section	.text._ZN7rocprim17ROCPRIM_400000_NS6detail17trampoline_kernelINS0_14default_configENS1_20scan_config_selectorIfEEZZNS1_9scan_implILNS1_25lookback_scan_determinismE0ELb1ELb1ES3_N6thrust23THRUST_200600_302600_NS6detail15normal_iteratorINS9_10device_ptrIKfEEEENSB_INSC_IfEEEEfNS9_4plusIvEEfEEDaPvRmT3_T4_T5_mT6_P12ihipStream_tbENKUlT_T0_E_clISt17integral_constantIbLb0EESW_IbLb1EEEEDaSS_ST_EUlSS_E_NS1_11comp_targetILNS1_3genE10ELNS1_11target_archE1201ELNS1_3gpuE5ELNS1_3repE0EEENS1_30default_config_static_selectorELNS0_4arch9wavefront6targetE1EEEvT1_,"axG",@progbits,_ZN7rocprim17ROCPRIM_400000_NS6detail17trampoline_kernelINS0_14default_configENS1_20scan_config_selectorIfEEZZNS1_9scan_implILNS1_25lookback_scan_determinismE0ELb1ELb1ES3_N6thrust23THRUST_200600_302600_NS6detail15normal_iteratorINS9_10device_ptrIKfEEEENSB_INSC_IfEEEEfNS9_4plusIvEEfEEDaPvRmT3_T4_T5_mT6_P12ihipStream_tbENKUlT_T0_E_clISt17integral_constantIbLb0EESW_IbLb1EEEEDaSS_ST_EUlSS_E_NS1_11comp_targetILNS1_3genE10ELNS1_11target_archE1201ELNS1_3gpuE5ELNS1_3repE0EEENS1_30default_config_static_selectorELNS0_4arch9wavefront6targetE1EEEvT1_,comdat
	.protected	_ZN7rocprim17ROCPRIM_400000_NS6detail17trampoline_kernelINS0_14default_configENS1_20scan_config_selectorIfEEZZNS1_9scan_implILNS1_25lookback_scan_determinismE0ELb1ELb1ES3_N6thrust23THRUST_200600_302600_NS6detail15normal_iteratorINS9_10device_ptrIKfEEEENSB_INSC_IfEEEEfNS9_4plusIvEEfEEDaPvRmT3_T4_T5_mT6_P12ihipStream_tbENKUlT_T0_E_clISt17integral_constantIbLb0EESW_IbLb1EEEEDaSS_ST_EUlSS_E_NS1_11comp_targetILNS1_3genE10ELNS1_11target_archE1201ELNS1_3gpuE5ELNS1_3repE0EEENS1_30default_config_static_selectorELNS0_4arch9wavefront6targetE1EEEvT1_ ; -- Begin function _ZN7rocprim17ROCPRIM_400000_NS6detail17trampoline_kernelINS0_14default_configENS1_20scan_config_selectorIfEEZZNS1_9scan_implILNS1_25lookback_scan_determinismE0ELb1ELb1ES3_N6thrust23THRUST_200600_302600_NS6detail15normal_iteratorINS9_10device_ptrIKfEEEENSB_INSC_IfEEEEfNS9_4plusIvEEfEEDaPvRmT3_T4_T5_mT6_P12ihipStream_tbENKUlT_T0_E_clISt17integral_constantIbLb0EESW_IbLb1EEEEDaSS_ST_EUlSS_E_NS1_11comp_targetILNS1_3genE10ELNS1_11target_archE1201ELNS1_3gpuE5ELNS1_3repE0EEENS1_30default_config_static_selectorELNS0_4arch9wavefront6targetE1EEEvT1_
	.globl	_ZN7rocprim17ROCPRIM_400000_NS6detail17trampoline_kernelINS0_14default_configENS1_20scan_config_selectorIfEEZZNS1_9scan_implILNS1_25lookback_scan_determinismE0ELb1ELb1ES3_N6thrust23THRUST_200600_302600_NS6detail15normal_iteratorINS9_10device_ptrIKfEEEENSB_INSC_IfEEEEfNS9_4plusIvEEfEEDaPvRmT3_T4_T5_mT6_P12ihipStream_tbENKUlT_T0_E_clISt17integral_constantIbLb0EESW_IbLb1EEEEDaSS_ST_EUlSS_E_NS1_11comp_targetILNS1_3genE10ELNS1_11target_archE1201ELNS1_3gpuE5ELNS1_3repE0EEENS1_30default_config_static_selectorELNS0_4arch9wavefront6targetE1EEEvT1_
	.p2align	8
	.type	_ZN7rocprim17ROCPRIM_400000_NS6detail17trampoline_kernelINS0_14default_configENS1_20scan_config_selectorIfEEZZNS1_9scan_implILNS1_25lookback_scan_determinismE0ELb1ELb1ES3_N6thrust23THRUST_200600_302600_NS6detail15normal_iteratorINS9_10device_ptrIKfEEEENSB_INSC_IfEEEEfNS9_4plusIvEEfEEDaPvRmT3_T4_T5_mT6_P12ihipStream_tbENKUlT_T0_E_clISt17integral_constantIbLb0EESW_IbLb1EEEEDaSS_ST_EUlSS_E_NS1_11comp_targetILNS1_3genE10ELNS1_11target_archE1201ELNS1_3gpuE5ELNS1_3repE0EEENS1_30default_config_static_selectorELNS0_4arch9wavefront6targetE1EEEvT1_,@function
_ZN7rocprim17ROCPRIM_400000_NS6detail17trampoline_kernelINS0_14default_configENS1_20scan_config_selectorIfEEZZNS1_9scan_implILNS1_25lookback_scan_determinismE0ELb1ELb1ES3_N6thrust23THRUST_200600_302600_NS6detail15normal_iteratorINS9_10device_ptrIKfEEEENSB_INSC_IfEEEEfNS9_4plusIvEEfEEDaPvRmT3_T4_T5_mT6_P12ihipStream_tbENKUlT_T0_E_clISt17integral_constantIbLb0EESW_IbLb1EEEEDaSS_ST_EUlSS_E_NS1_11comp_targetILNS1_3genE10ELNS1_11target_archE1201ELNS1_3gpuE5ELNS1_3repE0EEENS1_30default_config_static_selectorELNS0_4arch9wavefront6targetE1EEEvT1_: ; @_ZN7rocprim17ROCPRIM_400000_NS6detail17trampoline_kernelINS0_14default_configENS1_20scan_config_selectorIfEEZZNS1_9scan_implILNS1_25lookback_scan_determinismE0ELb1ELb1ES3_N6thrust23THRUST_200600_302600_NS6detail15normal_iteratorINS9_10device_ptrIKfEEEENSB_INSC_IfEEEEfNS9_4plusIvEEfEEDaPvRmT3_T4_T5_mT6_P12ihipStream_tbENKUlT_T0_E_clISt17integral_constantIbLb0EESW_IbLb1EEEEDaSS_ST_EUlSS_E_NS1_11comp_targetILNS1_3genE10ELNS1_11target_archE1201ELNS1_3gpuE5ELNS1_3repE0EEENS1_30default_config_static_selectorELNS0_4arch9wavefront6targetE1EEEvT1_
; %bb.0:
	.section	.rodata,"a",@progbits
	.p2align	6, 0x0
	.amdhsa_kernel _ZN7rocprim17ROCPRIM_400000_NS6detail17trampoline_kernelINS0_14default_configENS1_20scan_config_selectorIfEEZZNS1_9scan_implILNS1_25lookback_scan_determinismE0ELb1ELb1ES3_N6thrust23THRUST_200600_302600_NS6detail15normal_iteratorINS9_10device_ptrIKfEEEENSB_INSC_IfEEEEfNS9_4plusIvEEfEEDaPvRmT3_T4_T5_mT6_P12ihipStream_tbENKUlT_T0_E_clISt17integral_constantIbLb0EESW_IbLb1EEEEDaSS_ST_EUlSS_E_NS1_11comp_targetILNS1_3genE10ELNS1_11target_archE1201ELNS1_3gpuE5ELNS1_3repE0EEENS1_30default_config_static_selectorELNS0_4arch9wavefront6targetE1EEEvT1_
		.amdhsa_group_segment_fixed_size 0
		.amdhsa_private_segment_fixed_size 0
		.amdhsa_kernarg_size 96
		.amdhsa_user_sgpr_count 2
		.amdhsa_user_sgpr_dispatch_ptr 0
		.amdhsa_user_sgpr_queue_ptr 0
		.amdhsa_user_sgpr_kernarg_segment_ptr 1
		.amdhsa_user_sgpr_dispatch_id 0
		.amdhsa_user_sgpr_kernarg_preload_length 0
		.amdhsa_user_sgpr_kernarg_preload_offset 0
		.amdhsa_user_sgpr_private_segment_size 0
		.amdhsa_uses_dynamic_stack 0
		.amdhsa_enable_private_segment 0
		.amdhsa_system_sgpr_workgroup_id_x 1
		.amdhsa_system_sgpr_workgroup_id_y 0
		.amdhsa_system_sgpr_workgroup_id_z 0
		.amdhsa_system_sgpr_workgroup_info 0
		.amdhsa_system_vgpr_workitem_id 0
		.amdhsa_next_free_vgpr 1
		.amdhsa_next_free_sgpr 0
		.amdhsa_accum_offset 4
		.amdhsa_reserve_vcc 0
		.amdhsa_float_round_mode_32 0
		.amdhsa_float_round_mode_16_64 0
		.amdhsa_float_denorm_mode_32 3
		.amdhsa_float_denorm_mode_16_64 3
		.amdhsa_dx10_clamp 1
		.amdhsa_ieee_mode 1
		.amdhsa_fp16_overflow 0
		.amdhsa_tg_split 0
		.amdhsa_exception_fp_ieee_invalid_op 0
		.amdhsa_exception_fp_denorm_src 0
		.amdhsa_exception_fp_ieee_div_zero 0
		.amdhsa_exception_fp_ieee_overflow 0
		.amdhsa_exception_fp_ieee_underflow 0
		.amdhsa_exception_fp_ieee_inexact 0
		.amdhsa_exception_int_div_zero 0
	.end_amdhsa_kernel
	.section	.text._ZN7rocprim17ROCPRIM_400000_NS6detail17trampoline_kernelINS0_14default_configENS1_20scan_config_selectorIfEEZZNS1_9scan_implILNS1_25lookback_scan_determinismE0ELb1ELb1ES3_N6thrust23THRUST_200600_302600_NS6detail15normal_iteratorINS9_10device_ptrIKfEEEENSB_INSC_IfEEEEfNS9_4plusIvEEfEEDaPvRmT3_T4_T5_mT6_P12ihipStream_tbENKUlT_T0_E_clISt17integral_constantIbLb0EESW_IbLb1EEEEDaSS_ST_EUlSS_E_NS1_11comp_targetILNS1_3genE10ELNS1_11target_archE1201ELNS1_3gpuE5ELNS1_3repE0EEENS1_30default_config_static_selectorELNS0_4arch9wavefront6targetE1EEEvT1_,"axG",@progbits,_ZN7rocprim17ROCPRIM_400000_NS6detail17trampoline_kernelINS0_14default_configENS1_20scan_config_selectorIfEEZZNS1_9scan_implILNS1_25lookback_scan_determinismE0ELb1ELb1ES3_N6thrust23THRUST_200600_302600_NS6detail15normal_iteratorINS9_10device_ptrIKfEEEENSB_INSC_IfEEEEfNS9_4plusIvEEfEEDaPvRmT3_T4_T5_mT6_P12ihipStream_tbENKUlT_T0_E_clISt17integral_constantIbLb0EESW_IbLb1EEEEDaSS_ST_EUlSS_E_NS1_11comp_targetILNS1_3genE10ELNS1_11target_archE1201ELNS1_3gpuE5ELNS1_3repE0EEENS1_30default_config_static_selectorELNS0_4arch9wavefront6targetE1EEEvT1_,comdat
.Lfunc_end72:
	.size	_ZN7rocprim17ROCPRIM_400000_NS6detail17trampoline_kernelINS0_14default_configENS1_20scan_config_selectorIfEEZZNS1_9scan_implILNS1_25lookback_scan_determinismE0ELb1ELb1ES3_N6thrust23THRUST_200600_302600_NS6detail15normal_iteratorINS9_10device_ptrIKfEEEENSB_INSC_IfEEEEfNS9_4plusIvEEfEEDaPvRmT3_T4_T5_mT6_P12ihipStream_tbENKUlT_T0_E_clISt17integral_constantIbLb0EESW_IbLb1EEEEDaSS_ST_EUlSS_E_NS1_11comp_targetILNS1_3genE10ELNS1_11target_archE1201ELNS1_3gpuE5ELNS1_3repE0EEENS1_30default_config_static_selectorELNS0_4arch9wavefront6targetE1EEEvT1_, .Lfunc_end72-_ZN7rocprim17ROCPRIM_400000_NS6detail17trampoline_kernelINS0_14default_configENS1_20scan_config_selectorIfEEZZNS1_9scan_implILNS1_25lookback_scan_determinismE0ELb1ELb1ES3_N6thrust23THRUST_200600_302600_NS6detail15normal_iteratorINS9_10device_ptrIKfEEEENSB_INSC_IfEEEEfNS9_4plusIvEEfEEDaPvRmT3_T4_T5_mT6_P12ihipStream_tbENKUlT_T0_E_clISt17integral_constantIbLb0EESW_IbLb1EEEEDaSS_ST_EUlSS_E_NS1_11comp_targetILNS1_3genE10ELNS1_11target_archE1201ELNS1_3gpuE5ELNS1_3repE0EEENS1_30default_config_static_selectorELNS0_4arch9wavefront6targetE1EEEvT1_
                                        ; -- End function
	.section	.AMDGPU.csdata,"",@progbits
; Kernel info:
; codeLenInByte = 0
; NumSgprs: 6
; NumVgprs: 0
; NumAgprs: 0
; TotalNumVgprs: 0
; ScratchSize: 0
; MemoryBound: 0
; FloatMode: 240
; IeeeMode: 1
; LDSByteSize: 0 bytes/workgroup (compile time only)
; SGPRBlocks: 0
; VGPRBlocks: 0
; NumSGPRsForWavesPerEU: 6
; NumVGPRsForWavesPerEU: 1
; AccumOffset: 4
; Occupancy: 8
; WaveLimiterHint : 0
; COMPUTE_PGM_RSRC2:SCRATCH_EN: 0
; COMPUTE_PGM_RSRC2:USER_SGPR: 2
; COMPUTE_PGM_RSRC2:TRAP_HANDLER: 0
; COMPUTE_PGM_RSRC2:TGID_X_EN: 1
; COMPUTE_PGM_RSRC2:TGID_Y_EN: 0
; COMPUTE_PGM_RSRC2:TGID_Z_EN: 0
; COMPUTE_PGM_RSRC2:TIDIG_COMP_CNT: 0
; COMPUTE_PGM_RSRC3_GFX90A:ACCUM_OFFSET: 0
; COMPUTE_PGM_RSRC3_GFX90A:TG_SPLIT: 0
	.section	.text._ZN7rocprim17ROCPRIM_400000_NS6detail17trampoline_kernelINS0_14default_configENS1_20scan_config_selectorIfEEZZNS1_9scan_implILNS1_25lookback_scan_determinismE0ELb1ELb1ES3_N6thrust23THRUST_200600_302600_NS6detail15normal_iteratorINS9_10device_ptrIKfEEEENSB_INSC_IfEEEEfNS9_4plusIvEEfEEDaPvRmT3_T4_T5_mT6_P12ihipStream_tbENKUlT_T0_E_clISt17integral_constantIbLb0EESW_IbLb1EEEEDaSS_ST_EUlSS_E_NS1_11comp_targetILNS1_3genE10ELNS1_11target_archE1200ELNS1_3gpuE4ELNS1_3repE0EEENS1_30default_config_static_selectorELNS0_4arch9wavefront6targetE1EEEvT1_,"axG",@progbits,_ZN7rocprim17ROCPRIM_400000_NS6detail17trampoline_kernelINS0_14default_configENS1_20scan_config_selectorIfEEZZNS1_9scan_implILNS1_25lookback_scan_determinismE0ELb1ELb1ES3_N6thrust23THRUST_200600_302600_NS6detail15normal_iteratorINS9_10device_ptrIKfEEEENSB_INSC_IfEEEEfNS9_4plusIvEEfEEDaPvRmT3_T4_T5_mT6_P12ihipStream_tbENKUlT_T0_E_clISt17integral_constantIbLb0EESW_IbLb1EEEEDaSS_ST_EUlSS_E_NS1_11comp_targetILNS1_3genE10ELNS1_11target_archE1200ELNS1_3gpuE4ELNS1_3repE0EEENS1_30default_config_static_selectorELNS0_4arch9wavefront6targetE1EEEvT1_,comdat
	.protected	_ZN7rocprim17ROCPRIM_400000_NS6detail17trampoline_kernelINS0_14default_configENS1_20scan_config_selectorIfEEZZNS1_9scan_implILNS1_25lookback_scan_determinismE0ELb1ELb1ES3_N6thrust23THRUST_200600_302600_NS6detail15normal_iteratorINS9_10device_ptrIKfEEEENSB_INSC_IfEEEEfNS9_4plusIvEEfEEDaPvRmT3_T4_T5_mT6_P12ihipStream_tbENKUlT_T0_E_clISt17integral_constantIbLb0EESW_IbLb1EEEEDaSS_ST_EUlSS_E_NS1_11comp_targetILNS1_3genE10ELNS1_11target_archE1200ELNS1_3gpuE4ELNS1_3repE0EEENS1_30default_config_static_selectorELNS0_4arch9wavefront6targetE1EEEvT1_ ; -- Begin function _ZN7rocprim17ROCPRIM_400000_NS6detail17trampoline_kernelINS0_14default_configENS1_20scan_config_selectorIfEEZZNS1_9scan_implILNS1_25lookback_scan_determinismE0ELb1ELb1ES3_N6thrust23THRUST_200600_302600_NS6detail15normal_iteratorINS9_10device_ptrIKfEEEENSB_INSC_IfEEEEfNS9_4plusIvEEfEEDaPvRmT3_T4_T5_mT6_P12ihipStream_tbENKUlT_T0_E_clISt17integral_constantIbLb0EESW_IbLb1EEEEDaSS_ST_EUlSS_E_NS1_11comp_targetILNS1_3genE10ELNS1_11target_archE1200ELNS1_3gpuE4ELNS1_3repE0EEENS1_30default_config_static_selectorELNS0_4arch9wavefront6targetE1EEEvT1_
	.globl	_ZN7rocprim17ROCPRIM_400000_NS6detail17trampoline_kernelINS0_14default_configENS1_20scan_config_selectorIfEEZZNS1_9scan_implILNS1_25lookback_scan_determinismE0ELb1ELb1ES3_N6thrust23THRUST_200600_302600_NS6detail15normal_iteratorINS9_10device_ptrIKfEEEENSB_INSC_IfEEEEfNS9_4plusIvEEfEEDaPvRmT3_T4_T5_mT6_P12ihipStream_tbENKUlT_T0_E_clISt17integral_constantIbLb0EESW_IbLb1EEEEDaSS_ST_EUlSS_E_NS1_11comp_targetILNS1_3genE10ELNS1_11target_archE1200ELNS1_3gpuE4ELNS1_3repE0EEENS1_30default_config_static_selectorELNS0_4arch9wavefront6targetE1EEEvT1_
	.p2align	8
	.type	_ZN7rocprim17ROCPRIM_400000_NS6detail17trampoline_kernelINS0_14default_configENS1_20scan_config_selectorIfEEZZNS1_9scan_implILNS1_25lookback_scan_determinismE0ELb1ELb1ES3_N6thrust23THRUST_200600_302600_NS6detail15normal_iteratorINS9_10device_ptrIKfEEEENSB_INSC_IfEEEEfNS9_4plusIvEEfEEDaPvRmT3_T4_T5_mT6_P12ihipStream_tbENKUlT_T0_E_clISt17integral_constantIbLb0EESW_IbLb1EEEEDaSS_ST_EUlSS_E_NS1_11comp_targetILNS1_3genE10ELNS1_11target_archE1200ELNS1_3gpuE4ELNS1_3repE0EEENS1_30default_config_static_selectorELNS0_4arch9wavefront6targetE1EEEvT1_,@function
_ZN7rocprim17ROCPRIM_400000_NS6detail17trampoline_kernelINS0_14default_configENS1_20scan_config_selectorIfEEZZNS1_9scan_implILNS1_25lookback_scan_determinismE0ELb1ELb1ES3_N6thrust23THRUST_200600_302600_NS6detail15normal_iteratorINS9_10device_ptrIKfEEEENSB_INSC_IfEEEEfNS9_4plusIvEEfEEDaPvRmT3_T4_T5_mT6_P12ihipStream_tbENKUlT_T0_E_clISt17integral_constantIbLb0EESW_IbLb1EEEEDaSS_ST_EUlSS_E_NS1_11comp_targetILNS1_3genE10ELNS1_11target_archE1200ELNS1_3gpuE4ELNS1_3repE0EEENS1_30default_config_static_selectorELNS0_4arch9wavefront6targetE1EEEvT1_: ; @_ZN7rocprim17ROCPRIM_400000_NS6detail17trampoline_kernelINS0_14default_configENS1_20scan_config_selectorIfEEZZNS1_9scan_implILNS1_25lookback_scan_determinismE0ELb1ELb1ES3_N6thrust23THRUST_200600_302600_NS6detail15normal_iteratorINS9_10device_ptrIKfEEEENSB_INSC_IfEEEEfNS9_4plusIvEEfEEDaPvRmT3_T4_T5_mT6_P12ihipStream_tbENKUlT_T0_E_clISt17integral_constantIbLb0EESW_IbLb1EEEEDaSS_ST_EUlSS_E_NS1_11comp_targetILNS1_3genE10ELNS1_11target_archE1200ELNS1_3gpuE4ELNS1_3repE0EEENS1_30default_config_static_selectorELNS0_4arch9wavefront6targetE1EEEvT1_
; %bb.0:
	.section	.rodata,"a",@progbits
	.p2align	6, 0x0
	.amdhsa_kernel _ZN7rocprim17ROCPRIM_400000_NS6detail17trampoline_kernelINS0_14default_configENS1_20scan_config_selectorIfEEZZNS1_9scan_implILNS1_25lookback_scan_determinismE0ELb1ELb1ES3_N6thrust23THRUST_200600_302600_NS6detail15normal_iteratorINS9_10device_ptrIKfEEEENSB_INSC_IfEEEEfNS9_4plusIvEEfEEDaPvRmT3_T4_T5_mT6_P12ihipStream_tbENKUlT_T0_E_clISt17integral_constantIbLb0EESW_IbLb1EEEEDaSS_ST_EUlSS_E_NS1_11comp_targetILNS1_3genE10ELNS1_11target_archE1200ELNS1_3gpuE4ELNS1_3repE0EEENS1_30default_config_static_selectorELNS0_4arch9wavefront6targetE1EEEvT1_
		.amdhsa_group_segment_fixed_size 0
		.amdhsa_private_segment_fixed_size 0
		.amdhsa_kernarg_size 96
		.amdhsa_user_sgpr_count 2
		.amdhsa_user_sgpr_dispatch_ptr 0
		.amdhsa_user_sgpr_queue_ptr 0
		.amdhsa_user_sgpr_kernarg_segment_ptr 1
		.amdhsa_user_sgpr_dispatch_id 0
		.amdhsa_user_sgpr_kernarg_preload_length 0
		.amdhsa_user_sgpr_kernarg_preload_offset 0
		.amdhsa_user_sgpr_private_segment_size 0
		.amdhsa_uses_dynamic_stack 0
		.amdhsa_enable_private_segment 0
		.amdhsa_system_sgpr_workgroup_id_x 1
		.amdhsa_system_sgpr_workgroup_id_y 0
		.amdhsa_system_sgpr_workgroup_id_z 0
		.amdhsa_system_sgpr_workgroup_info 0
		.amdhsa_system_vgpr_workitem_id 0
		.amdhsa_next_free_vgpr 1
		.amdhsa_next_free_sgpr 0
		.amdhsa_accum_offset 4
		.amdhsa_reserve_vcc 0
		.amdhsa_float_round_mode_32 0
		.amdhsa_float_round_mode_16_64 0
		.amdhsa_float_denorm_mode_32 3
		.amdhsa_float_denorm_mode_16_64 3
		.amdhsa_dx10_clamp 1
		.amdhsa_ieee_mode 1
		.amdhsa_fp16_overflow 0
		.amdhsa_tg_split 0
		.amdhsa_exception_fp_ieee_invalid_op 0
		.amdhsa_exception_fp_denorm_src 0
		.amdhsa_exception_fp_ieee_div_zero 0
		.amdhsa_exception_fp_ieee_overflow 0
		.amdhsa_exception_fp_ieee_underflow 0
		.amdhsa_exception_fp_ieee_inexact 0
		.amdhsa_exception_int_div_zero 0
	.end_amdhsa_kernel
	.section	.text._ZN7rocprim17ROCPRIM_400000_NS6detail17trampoline_kernelINS0_14default_configENS1_20scan_config_selectorIfEEZZNS1_9scan_implILNS1_25lookback_scan_determinismE0ELb1ELb1ES3_N6thrust23THRUST_200600_302600_NS6detail15normal_iteratorINS9_10device_ptrIKfEEEENSB_INSC_IfEEEEfNS9_4plusIvEEfEEDaPvRmT3_T4_T5_mT6_P12ihipStream_tbENKUlT_T0_E_clISt17integral_constantIbLb0EESW_IbLb1EEEEDaSS_ST_EUlSS_E_NS1_11comp_targetILNS1_3genE10ELNS1_11target_archE1200ELNS1_3gpuE4ELNS1_3repE0EEENS1_30default_config_static_selectorELNS0_4arch9wavefront6targetE1EEEvT1_,"axG",@progbits,_ZN7rocprim17ROCPRIM_400000_NS6detail17trampoline_kernelINS0_14default_configENS1_20scan_config_selectorIfEEZZNS1_9scan_implILNS1_25lookback_scan_determinismE0ELb1ELb1ES3_N6thrust23THRUST_200600_302600_NS6detail15normal_iteratorINS9_10device_ptrIKfEEEENSB_INSC_IfEEEEfNS9_4plusIvEEfEEDaPvRmT3_T4_T5_mT6_P12ihipStream_tbENKUlT_T0_E_clISt17integral_constantIbLb0EESW_IbLb1EEEEDaSS_ST_EUlSS_E_NS1_11comp_targetILNS1_3genE10ELNS1_11target_archE1200ELNS1_3gpuE4ELNS1_3repE0EEENS1_30default_config_static_selectorELNS0_4arch9wavefront6targetE1EEEvT1_,comdat
.Lfunc_end73:
	.size	_ZN7rocprim17ROCPRIM_400000_NS6detail17trampoline_kernelINS0_14default_configENS1_20scan_config_selectorIfEEZZNS1_9scan_implILNS1_25lookback_scan_determinismE0ELb1ELb1ES3_N6thrust23THRUST_200600_302600_NS6detail15normal_iteratorINS9_10device_ptrIKfEEEENSB_INSC_IfEEEEfNS9_4plusIvEEfEEDaPvRmT3_T4_T5_mT6_P12ihipStream_tbENKUlT_T0_E_clISt17integral_constantIbLb0EESW_IbLb1EEEEDaSS_ST_EUlSS_E_NS1_11comp_targetILNS1_3genE10ELNS1_11target_archE1200ELNS1_3gpuE4ELNS1_3repE0EEENS1_30default_config_static_selectorELNS0_4arch9wavefront6targetE1EEEvT1_, .Lfunc_end73-_ZN7rocprim17ROCPRIM_400000_NS6detail17trampoline_kernelINS0_14default_configENS1_20scan_config_selectorIfEEZZNS1_9scan_implILNS1_25lookback_scan_determinismE0ELb1ELb1ES3_N6thrust23THRUST_200600_302600_NS6detail15normal_iteratorINS9_10device_ptrIKfEEEENSB_INSC_IfEEEEfNS9_4plusIvEEfEEDaPvRmT3_T4_T5_mT6_P12ihipStream_tbENKUlT_T0_E_clISt17integral_constantIbLb0EESW_IbLb1EEEEDaSS_ST_EUlSS_E_NS1_11comp_targetILNS1_3genE10ELNS1_11target_archE1200ELNS1_3gpuE4ELNS1_3repE0EEENS1_30default_config_static_selectorELNS0_4arch9wavefront6targetE1EEEvT1_
                                        ; -- End function
	.section	.AMDGPU.csdata,"",@progbits
; Kernel info:
; codeLenInByte = 0
; NumSgprs: 6
; NumVgprs: 0
; NumAgprs: 0
; TotalNumVgprs: 0
; ScratchSize: 0
; MemoryBound: 0
; FloatMode: 240
; IeeeMode: 1
; LDSByteSize: 0 bytes/workgroup (compile time only)
; SGPRBlocks: 0
; VGPRBlocks: 0
; NumSGPRsForWavesPerEU: 6
; NumVGPRsForWavesPerEU: 1
; AccumOffset: 4
; Occupancy: 8
; WaveLimiterHint : 0
; COMPUTE_PGM_RSRC2:SCRATCH_EN: 0
; COMPUTE_PGM_RSRC2:USER_SGPR: 2
; COMPUTE_PGM_RSRC2:TRAP_HANDLER: 0
; COMPUTE_PGM_RSRC2:TGID_X_EN: 1
; COMPUTE_PGM_RSRC2:TGID_Y_EN: 0
; COMPUTE_PGM_RSRC2:TGID_Z_EN: 0
; COMPUTE_PGM_RSRC2:TIDIG_COMP_CNT: 0
; COMPUTE_PGM_RSRC3_GFX90A:ACCUM_OFFSET: 0
; COMPUTE_PGM_RSRC3_GFX90A:TG_SPLIT: 0
	.section	.text._ZN7rocprim17ROCPRIM_400000_NS6detail17trampoline_kernelINS0_14default_configENS1_20scan_config_selectorIfEEZZNS1_9scan_implILNS1_25lookback_scan_determinismE0ELb1ELb1ES3_N6thrust23THRUST_200600_302600_NS6detail15normal_iteratorINS9_10device_ptrIKfEEEENSB_INSC_IfEEEEfNS9_4plusIvEEfEEDaPvRmT3_T4_T5_mT6_P12ihipStream_tbENKUlT_T0_E_clISt17integral_constantIbLb0EESW_IbLb1EEEEDaSS_ST_EUlSS_E_NS1_11comp_targetILNS1_3genE9ELNS1_11target_archE1100ELNS1_3gpuE3ELNS1_3repE0EEENS1_30default_config_static_selectorELNS0_4arch9wavefront6targetE1EEEvT1_,"axG",@progbits,_ZN7rocprim17ROCPRIM_400000_NS6detail17trampoline_kernelINS0_14default_configENS1_20scan_config_selectorIfEEZZNS1_9scan_implILNS1_25lookback_scan_determinismE0ELb1ELb1ES3_N6thrust23THRUST_200600_302600_NS6detail15normal_iteratorINS9_10device_ptrIKfEEEENSB_INSC_IfEEEEfNS9_4plusIvEEfEEDaPvRmT3_T4_T5_mT6_P12ihipStream_tbENKUlT_T0_E_clISt17integral_constantIbLb0EESW_IbLb1EEEEDaSS_ST_EUlSS_E_NS1_11comp_targetILNS1_3genE9ELNS1_11target_archE1100ELNS1_3gpuE3ELNS1_3repE0EEENS1_30default_config_static_selectorELNS0_4arch9wavefront6targetE1EEEvT1_,comdat
	.protected	_ZN7rocprim17ROCPRIM_400000_NS6detail17trampoline_kernelINS0_14default_configENS1_20scan_config_selectorIfEEZZNS1_9scan_implILNS1_25lookback_scan_determinismE0ELb1ELb1ES3_N6thrust23THRUST_200600_302600_NS6detail15normal_iteratorINS9_10device_ptrIKfEEEENSB_INSC_IfEEEEfNS9_4plusIvEEfEEDaPvRmT3_T4_T5_mT6_P12ihipStream_tbENKUlT_T0_E_clISt17integral_constantIbLb0EESW_IbLb1EEEEDaSS_ST_EUlSS_E_NS1_11comp_targetILNS1_3genE9ELNS1_11target_archE1100ELNS1_3gpuE3ELNS1_3repE0EEENS1_30default_config_static_selectorELNS0_4arch9wavefront6targetE1EEEvT1_ ; -- Begin function _ZN7rocprim17ROCPRIM_400000_NS6detail17trampoline_kernelINS0_14default_configENS1_20scan_config_selectorIfEEZZNS1_9scan_implILNS1_25lookback_scan_determinismE0ELb1ELb1ES3_N6thrust23THRUST_200600_302600_NS6detail15normal_iteratorINS9_10device_ptrIKfEEEENSB_INSC_IfEEEEfNS9_4plusIvEEfEEDaPvRmT3_T4_T5_mT6_P12ihipStream_tbENKUlT_T0_E_clISt17integral_constantIbLb0EESW_IbLb1EEEEDaSS_ST_EUlSS_E_NS1_11comp_targetILNS1_3genE9ELNS1_11target_archE1100ELNS1_3gpuE3ELNS1_3repE0EEENS1_30default_config_static_selectorELNS0_4arch9wavefront6targetE1EEEvT1_
	.globl	_ZN7rocprim17ROCPRIM_400000_NS6detail17trampoline_kernelINS0_14default_configENS1_20scan_config_selectorIfEEZZNS1_9scan_implILNS1_25lookback_scan_determinismE0ELb1ELb1ES3_N6thrust23THRUST_200600_302600_NS6detail15normal_iteratorINS9_10device_ptrIKfEEEENSB_INSC_IfEEEEfNS9_4plusIvEEfEEDaPvRmT3_T4_T5_mT6_P12ihipStream_tbENKUlT_T0_E_clISt17integral_constantIbLb0EESW_IbLb1EEEEDaSS_ST_EUlSS_E_NS1_11comp_targetILNS1_3genE9ELNS1_11target_archE1100ELNS1_3gpuE3ELNS1_3repE0EEENS1_30default_config_static_selectorELNS0_4arch9wavefront6targetE1EEEvT1_
	.p2align	8
	.type	_ZN7rocprim17ROCPRIM_400000_NS6detail17trampoline_kernelINS0_14default_configENS1_20scan_config_selectorIfEEZZNS1_9scan_implILNS1_25lookback_scan_determinismE0ELb1ELb1ES3_N6thrust23THRUST_200600_302600_NS6detail15normal_iteratorINS9_10device_ptrIKfEEEENSB_INSC_IfEEEEfNS9_4plusIvEEfEEDaPvRmT3_T4_T5_mT6_P12ihipStream_tbENKUlT_T0_E_clISt17integral_constantIbLb0EESW_IbLb1EEEEDaSS_ST_EUlSS_E_NS1_11comp_targetILNS1_3genE9ELNS1_11target_archE1100ELNS1_3gpuE3ELNS1_3repE0EEENS1_30default_config_static_selectorELNS0_4arch9wavefront6targetE1EEEvT1_,@function
_ZN7rocprim17ROCPRIM_400000_NS6detail17trampoline_kernelINS0_14default_configENS1_20scan_config_selectorIfEEZZNS1_9scan_implILNS1_25lookback_scan_determinismE0ELb1ELb1ES3_N6thrust23THRUST_200600_302600_NS6detail15normal_iteratorINS9_10device_ptrIKfEEEENSB_INSC_IfEEEEfNS9_4plusIvEEfEEDaPvRmT3_T4_T5_mT6_P12ihipStream_tbENKUlT_T0_E_clISt17integral_constantIbLb0EESW_IbLb1EEEEDaSS_ST_EUlSS_E_NS1_11comp_targetILNS1_3genE9ELNS1_11target_archE1100ELNS1_3gpuE3ELNS1_3repE0EEENS1_30default_config_static_selectorELNS0_4arch9wavefront6targetE1EEEvT1_: ; @_ZN7rocprim17ROCPRIM_400000_NS6detail17trampoline_kernelINS0_14default_configENS1_20scan_config_selectorIfEEZZNS1_9scan_implILNS1_25lookback_scan_determinismE0ELb1ELb1ES3_N6thrust23THRUST_200600_302600_NS6detail15normal_iteratorINS9_10device_ptrIKfEEEENSB_INSC_IfEEEEfNS9_4plusIvEEfEEDaPvRmT3_T4_T5_mT6_P12ihipStream_tbENKUlT_T0_E_clISt17integral_constantIbLb0EESW_IbLb1EEEEDaSS_ST_EUlSS_E_NS1_11comp_targetILNS1_3genE9ELNS1_11target_archE1100ELNS1_3gpuE3ELNS1_3repE0EEENS1_30default_config_static_selectorELNS0_4arch9wavefront6targetE1EEEvT1_
; %bb.0:
	.section	.rodata,"a",@progbits
	.p2align	6, 0x0
	.amdhsa_kernel _ZN7rocprim17ROCPRIM_400000_NS6detail17trampoline_kernelINS0_14default_configENS1_20scan_config_selectorIfEEZZNS1_9scan_implILNS1_25lookback_scan_determinismE0ELb1ELb1ES3_N6thrust23THRUST_200600_302600_NS6detail15normal_iteratorINS9_10device_ptrIKfEEEENSB_INSC_IfEEEEfNS9_4plusIvEEfEEDaPvRmT3_T4_T5_mT6_P12ihipStream_tbENKUlT_T0_E_clISt17integral_constantIbLb0EESW_IbLb1EEEEDaSS_ST_EUlSS_E_NS1_11comp_targetILNS1_3genE9ELNS1_11target_archE1100ELNS1_3gpuE3ELNS1_3repE0EEENS1_30default_config_static_selectorELNS0_4arch9wavefront6targetE1EEEvT1_
		.amdhsa_group_segment_fixed_size 0
		.amdhsa_private_segment_fixed_size 0
		.amdhsa_kernarg_size 96
		.amdhsa_user_sgpr_count 2
		.amdhsa_user_sgpr_dispatch_ptr 0
		.amdhsa_user_sgpr_queue_ptr 0
		.amdhsa_user_sgpr_kernarg_segment_ptr 1
		.amdhsa_user_sgpr_dispatch_id 0
		.amdhsa_user_sgpr_kernarg_preload_length 0
		.amdhsa_user_sgpr_kernarg_preload_offset 0
		.amdhsa_user_sgpr_private_segment_size 0
		.amdhsa_uses_dynamic_stack 0
		.amdhsa_enable_private_segment 0
		.amdhsa_system_sgpr_workgroup_id_x 1
		.amdhsa_system_sgpr_workgroup_id_y 0
		.amdhsa_system_sgpr_workgroup_id_z 0
		.amdhsa_system_sgpr_workgroup_info 0
		.amdhsa_system_vgpr_workitem_id 0
		.amdhsa_next_free_vgpr 1
		.amdhsa_next_free_sgpr 0
		.amdhsa_accum_offset 4
		.amdhsa_reserve_vcc 0
		.amdhsa_float_round_mode_32 0
		.amdhsa_float_round_mode_16_64 0
		.amdhsa_float_denorm_mode_32 3
		.amdhsa_float_denorm_mode_16_64 3
		.amdhsa_dx10_clamp 1
		.amdhsa_ieee_mode 1
		.amdhsa_fp16_overflow 0
		.amdhsa_tg_split 0
		.amdhsa_exception_fp_ieee_invalid_op 0
		.amdhsa_exception_fp_denorm_src 0
		.amdhsa_exception_fp_ieee_div_zero 0
		.amdhsa_exception_fp_ieee_overflow 0
		.amdhsa_exception_fp_ieee_underflow 0
		.amdhsa_exception_fp_ieee_inexact 0
		.amdhsa_exception_int_div_zero 0
	.end_amdhsa_kernel
	.section	.text._ZN7rocprim17ROCPRIM_400000_NS6detail17trampoline_kernelINS0_14default_configENS1_20scan_config_selectorIfEEZZNS1_9scan_implILNS1_25lookback_scan_determinismE0ELb1ELb1ES3_N6thrust23THRUST_200600_302600_NS6detail15normal_iteratorINS9_10device_ptrIKfEEEENSB_INSC_IfEEEEfNS9_4plusIvEEfEEDaPvRmT3_T4_T5_mT6_P12ihipStream_tbENKUlT_T0_E_clISt17integral_constantIbLb0EESW_IbLb1EEEEDaSS_ST_EUlSS_E_NS1_11comp_targetILNS1_3genE9ELNS1_11target_archE1100ELNS1_3gpuE3ELNS1_3repE0EEENS1_30default_config_static_selectorELNS0_4arch9wavefront6targetE1EEEvT1_,"axG",@progbits,_ZN7rocprim17ROCPRIM_400000_NS6detail17trampoline_kernelINS0_14default_configENS1_20scan_config_selectorIfEEZZNS1_9scan_implILNS1_25lookback_scan_determinismE0ELb1ELb1ES3_N6thrust23THRUST_200600_302600_NS6detail15normal_iteratorINS9_10device_ptrIKfEEEENSB_INSC_IfEEEEfNS9_4plusIvEEfEEDaPvRmT3_T4_T5_mT6_P12ihipStream_tbENKUlT_T0_E_clISt17integral_constantIbLb0EESW_IbLb1EEEEDaSS_ST_EUlSS_E_NS1_11comp_targetILNS1_3genE9ELNS1_11target_archE1100ELNS1_3gpuE3ELNS1_3repE0EEENS1_30default_config_static_selectorELNS0_4arch9wavefront6targetE1EEEvT1_,comdat
.Lfunc_end74:
	.size	_ZN7rocprim17ROCPRIM_400000_NS6detail17trampoline_kernelINS0_14default_configENS1_20scan_config_selectorIfEEZZNS1_9scan_implILNS1_25lookback_scan_determinismE0ELb1ELb1ES3_N6thrust23THRUST_200600_302600_NS6detail15normal_iteratorINS9_10device_ptrIKfEEEENSB_INSC_IfEEEEfNS9_4plusIvEEfEEDaPvRmT3_T4_T5_mT6_P12ihipStream_tbENKUlT_T0_E_clISt17integral_constantIbLb0EESW_IbLb1EEEEDaSS_ST_EUlSS_E_NS1_11comp_targetILNS1_3genE9ELNS1_11target_archE1100ELNS1_3gpuE3ELNS1_3repE0EEENS1_30default_config_static_selectorELNS0_4arch9wavefront6targetE1EEEvT1_, .Lfunc_end74-_ZN7rocprim17ROCPRIM_400000_NS6detail17trampoline_kernelINS0_14default_configENS1_20scan_config_selectorIfEEZZNS1_9scan_implILNS1_25lookback_scan_determinismE0ELb1ELb1ES3_N6thrust23THRUST_200600_302600_NS6detail15normal_iteratorINS9_10device_ptrIKfEEEENSB_INSC_IfEEEEfNS9_4plusIvEEfEEDaPvRmT3_T4_T5_mT6_P12ihipStream_tbENKUlT_T0_E_clISt17integral_constantIbLb0EESW_IbLb1EEEEDaSS_ST_EUlSS_E_NS1_11comp_targetILNS1_3genE9ELNS1_11target_archE1100ELNS1_3gpuE3ELNS1_3repE0EEENS1_30default_config_static_selectorELNS0_4arch9wavefront6targetE1EEEvT1_
                                        ; -- End function
	.section	.AMDGPU.csdata,"",@progbits
; Kernel info:
; codeLenInByte = 0
; NumSgprs: 6
; NumVgprs: 0
; NumAgprs: 0
; TotalNumVgprs: 0
; ScratchSize: 0
; MemoryBound: 0
; FloatMode: 240
; IeeeMode: 1
; LDSByteSize: 0 bytes/workgroup (compile time only)
; SGPRBlocks: 0
; VGPRBlocks: 0
; NumSGPRsForWavesPerEU: 6
; NumVGPRsForWavesPerEU: 1
; AccumOffset: 4
; Occupancy: 8
; WaveLimiterHint : 0
; COMPUTE_PGM_RSRC2:SCRATCH_EN: 0
; COMPUTE_PGM_RSRC2:USER_SGPR: 2
; COMPUTE_PGM_RSRC2:TRAP_HANDLER: 0
; COMPUTE_PGM_RSRC2:TGID_X_EN: 1
; COMPUTE_PGM_RSRC2:TGID_Y_EN: 0
; COMPUTE_PGM_RSRC2:TGID_Z_EN: 0
; COMPUTE_PGM_RSRC2:TIDIG_COMP_CNT: 0
; COMPUTE_PGM_RSRC3_GFX90A:ACCUM_OFFSET: 0
; COMPUTE_PGM_RSRC3_GFX90A:TG_SPLIT: 0
	.section	.text._ZN7rocprim17ROCPRIM_400000_NS6detail17trampoline_kernelINS0_14default_configENS1_20scan_config_selectorIfEEZZNS1_9scan_implILNS1_25lookback_scan_determinismE0ELb1ELb1ES3_N6thrust23THRUST_200600_302600_NS6detail15normal_iteratorINS9_10device_ptrIKfEEEENSB_INSC_IfEEEEfNS9_4plusIvEEfEEDaPvRmT3_T4_T5_mT6_P12ihipStream_tbENKUlT_T0_E_clISt17integral_constantIbLb0EESW_IbLb1EEEEDaSS_ST_EUlSS_E_NS1_11comp_targetILNS1_3genE8ELNS1_11target_archE1030ELNS1_3gpuE2ELNS1_3repE0EEENS1_30default_config_static_selectorELNS0_4arch9wavefront6targetE1EEEvT1_,"axG",@progbits,_ZN7rocprim17ROCPRIM_400000_NS6detail17trampoline_kernelINS0_14default_configENS1_20scan_config_selectorIfEEZZNS1_9scan_implILNS1_25lookback_scan_determinismE0ELb1ELb1ES3_N6thrust23THRUST_200600_302600_NS6detail15normal_iteratorINS9_10device_ptrIKfEEEENSB_INSC_IfEEEEfNS9_4plusIvEEfEEDaPvRmT3_T4_T5_mT6_P12ihipStream_tbENKUlT_T0_E_clISt17integral_constantIbLb0EESW_IbLb1EEEEDaSS_ST_EUlSS_E_NS1_11comp_targetILNS1_3genE8ELNS1_11target_archE1030ELNS1_3gpuE2ELNS1_3repE0EEENS1_30default_config_static_selectorELNS0_4arch9wavefront6targetE1EEEvT1_,comdat
	.protected	_ZN7rocprim17ROCPRIM_400000_NS6detail17trampoline_kernelINS0_14default_configENS1_20scan_config_selectorIfEEZZNS1_9scan_implILNS1_25lookback_scan_determinismE0ELb1ELb1ES3_N6thrust23THRUST_200600_302600_NS6detail15normal_iteratorINS9_10device_ptrIKfEEEENSB_INSC_IfEEEEfNS9_4plusIvEEfEEDaPvRmT3_T4_T5_mT6_P12ihipStream_tbENKUlT_T0_E_clISt17integral_constantIbLb0EESW_IbLb1EEEEDaSS_ST_EUlSS_E_NS1_11comp_targetILNS1_3genE8ELNS1_11target_archE1030ELNS1_3gpuE2ELNS1_3repE0EEENS1_30default_config_static_selectorELNS0_4arch9wavefront6targetE1EEEvT1_ ; -- Begin function _ZN7rocprim17ROCPRIM_400000_NS6detail17trampoline_kernelINS0_14default_configENS1_20scan_config_selectorIfEEZZNS1_9scan_implILNS1_25lookback_scan_determinismE0ELb1ELb1ES3_N6thrust23THRUST_200600_302600_NS6detail15normal_iteratorINS9_10device_ptrIKfEEEENSB_INSC_IfEEEEfNS9_4plusIvEEfEEDaPvRmT3_T4_T5_mT6_P12ihipStream_tbENKUlT_T0_E_clISt17integral_constantIbLb0EESW_IbLb1EEEEDaSS_ST_EUlSS_E_NS1_11comp_targetILNS1_3genE8ELNS1_11target_archE1030ELNS1_3gpuE2ELNS1_3repE0EEENS1_30default_config_static_selectorELNS0_4arch9wavefront6targetE1EEEvT1_
	.globl	_ZN7rocprim17ROCPRIM_400000_NS6detail17trampoline_kernelINS0_14default_configENS1_20scan_config_selectorIfEEZZNS1_9scan_implILNS1_25lookback_scan_determinismE0ELb1ELb1ES3_N6thrust23THRUST_200600_302600_NS6detail15normal_iteratorINS9_10device_ptrIKfEEEENSB_INSC_IfEEEEfNS9_4plusIvEEfEEDaPvRmT3_T4_T5_mT6_P12ihipStream_tbENKUlT_T0_E_clISt17integral_constantIbLb0EESW_IbLb1EEEEDaSS_ST_EUlSS_E_NS1_11comp_targetILNS1_3genE8ELNS1_11target_archE1030ELNS1_3gpuE2ELNS1_3repE0EEENS1_30default_config_static_selectorELNS0_4arch9wavefront6targetE1EEEvT1_
	.p2align	8
	.type	_ZN7rocprim17ROCPRIM_400000_NS6detail17trampoline_kernelINS0_14default_configENS1_20scan_config_selectorIfEEZZNS1_9scan_implILNS1_25lookback_scan_determinismE0ELb1ELb1ES3_N6thrust23THRUST_200600_302600_NS6detail15normal_iteratorINS9_10device_ptrIKfEEEENSB_INSC_IfEEEEfNS9_4plusIvEEfEEDaPvRmT3_T4_T5_mT6_P12ihipStream_tbENKUlT_T0_E_clISt17integral_constantIbLb0EESW_IbLb1EEEEDaSS_ST_EUlSS_E_NS1_11comp_targetILNS1_3genE8ELNS1_11target_archE1030ELNS1_3gpuE2ELNS1_3repE0EEENS1_30default_config_static_selectorELNS0_4arch9wavefront6targetE1EEEvT1_,@function
_ZN7rocprim17ROCPRIM_400000_NS6detail17trampoline_kernelINS0_14default_configENS1_20scan_config_selectorIfEEZZNS1_9scan_implILNS1_25lookback_scan_determinismE0ELb1ELb1ES3_N6thrust23THRUST_200600_302600_NS6detail15normal_iteratorINS9_10device_ptrIKfEEEENSB_INSC_IfEEEEfNS9_4plusIvEEfEEDaPvRmT3_T4_T5_mT6_P12ihipStream_tbENKUlT_T0_E_clISt17integral_constantIbLb0EESW_IbLb1EEEEDaSS_ST_EUlSS_E_NS1_11comp_targetILNS1_3genE8ELNS1_11target_archE1030ELNS1_3gpuE2ELNS1_3repE0EEENS1_30default_config_static_selectorELNS0_4arch9wavefront6targetE1EEEvT1_: ; @_ZN7rocprim17ROCPRIM_400000_NS6detail17trampoline_kernelINS0_14default_configENS1_20scan_config_selectorIfEEZZNS1_9scan_implILNS1_25lookback_scan_determinismE0ELb1ELb1ES3_N6thrust23THRUST_200600_302600_NS6detail15normal_iteratorINS9_10device_ptrIKfEEEENSB_INSC_IfEEEEfNS9_4plusIvEEfEEDaPvRmT3_T4_T5_mT6_P12ihipStream_tbENKUlT_T0_E_clISt17integral_constantIbLb0EESW_IbLb1EEEEDaSS_ST_EUlSS_E_NS1_11comp_targetILNS1_3genE8ELNS1_11target_archE1030ELNS1_3gpuE2ELNS1_3repE0EEENS1_30default_config_static_selectorELNS0_4arch9wavefront6targetE1EEEvT1_
; %bb.0:
	.section	.rodata,"a",@progbits
	.p2align	6, 0x0
	.amdhsa_kernel _ZN7rocprim17ROCPRIM_400000_NS6detail17trampoline_kernelINS0_14default_configENS1_20scan_config_selectorIfEEZZNS1_9scan_implILNS1_25lookback_scan_determinismE0ELb1ELb1ES3_N6thrust23THRUST_200600_302600_NS6detail15normal_iteratorINS9_10device_ptrIKfEEEENSB_INSC_IfEEEEfNS9_4plusIvEEfEEDaPvRmT3_T4_T5_mT6_P12ihipStream_tbENKUlT_T0_E_clISt17integral_constantIbLb0EESW_IbLb1EEEEDaSS_ST_EUlSS_E_NS1_11comp_targetILNS1_3genE8ELNS1_11target_archE1030ELNS1_3gpuE2ELNS1_3repE0EEENS1_30default_config_static_selectorELNS0_4arch9wavefront6targetE1EEEvT1_
		.amdhsa_group_segment_fixed_size 0
		.amdhsa_private_segment_fixed_size 0
		.amdhsa_kernarg_size 96
		.amdhsa_user_sgpr_count 2
		.amdhsa_user_sgpr_dispatch_ptr 0
		.amdhsa_user_sgpr_queue_ptr 0
		.amdhsa_user_sgpr_kernarg_segment_ptr 1
		.amdhsa_user_sgpr_dispatch_id 0
		.amdhsa_user_sgpr_kernarg_preload_length 0
		.amdhsa_user_sgpr_kernarg_preload_offset 0
		.amdhsa_user_sgpr_private_segment_size 0
		.amdhsa_uses_dynamic_stack 0
		.amdhsa_enable_private_segment 0
		.amdhsa_system_sgpr_workgroup_id_x 1
		.amdhsa_system_sgpr_workgroup_id_y 0
		.amdhsa_system_sgpr_workgroup_id_z 0
		.amdhsa_system_sgpr_workgroup_info 0
		.amdhsa_system_vgpr_workitem_id 0
		.amdhsa_next_free_vgpr 1
		.amdhsa_next_free_sgpr 0
		.amdhsa_accum_offset 4
		.amdhsa_reserve_vcc 0
		.amdhsa_float_round_mode_32 0
		.amdhsa_float_round_mode_16_64 0
		.amdhsa_float_denorm_mode_32 3
		.amdhsa_float_denorm_mode_16_64 3
		.amdhsa_dx10_clamp 1
		.amdhsa_ieee_mode 1
		.amdhsa_fp16_overflow 0
		.amdhsa_tg_split 0
		.amdhsa_exception_fp_ieee_invalid_op 0
		.amdhsa_exception_fp_denorm_src 0
		.amdhsa_exception_fp_ieee_div_zero 0
		.amdhsa_exception_fp_ieee_overflow 0
		.amdhsa_exception_fp_ieee_underflow 0
		.amdhsa_exception_fp_ieee_inexact 0
		.amdhsa_exception_int_div_zero 0
	.end_amdhsa_kernel
	.section	.text._ZN7rocprim17ROCPRIM_400000_NS6detail17trampoline_kernelINS0_14default_configENS1_20scan_config_selectorIfEEZZNS1_9scan_implILNS1_25lookback_scan_determinismE0ELb1ELb1ES3_N6thrust23THRUST_200600_302600_NS6detail15normal_iteratorINS9_10device_ptrIKfEEEENSB_INSC_IfEEEEfNS9_4plusIvEEfEEDaPvRmT3_T4_T5_mT6_P12ihipStream_tbENKUlT_T0_E_clISt17integral_constantIbLb0EESW_IbLb1EEEEDaSS_ST_EUlSS_E_NS1_11comp_targetILNS1_3genE8ELNS1_11target_archE1030ELNS1_3gpuE2ELNS1_3repE0EEENS1_30default_config_static_selectorELNS0_4arch9wavefront6targetE1EEEvT1_,"axG",@progbits,_ZN7rocprim17ROCPRIM_400000_NS6detail17trampoline_kernelINS0_14default_configENS1_20scan_config_selectorIfEEZZNS1_9scan_implILNS1_25lookback_scan_determinismE0ELb1ELb1ES3_N6thrust23THRUST_200600_302600_NS6detail15normal_iteratorINS9_10device_ptrIKfEEEENSB_INSC_IfEEEEfNS9_4plusIvEEfEEDaPvRmT3_T4_T5_mT6_P12ihipStream_tbENKUlT_T0_E_clISt17integral_constantIbLb0EESW_IbLb1EEEEDaSS_ST_EUlSS_E_NS1_11comp_targetILNS1_3genE8ELNS1_11target_archE1030ELNS1_3gpuE2ELNS1_3repE0EEENS1_30default_config_static_selectorELNS0_4arch9wavefront6targetE1EEEvT1_,comdat
.Lfunc_end75:
	.size	_ZN7rocprim17ROCPRIM_400000_NS6detail17trampoline_kernelINS0_14default_configENS1_20scan_config_selectorIfEEZZNS1_9scan_implILNS1_25lookback_scan_determinismE0ELb1ELb1ES3_N6thrust23THRUST_200600_302600_NS6detail15normal_iteratorINS9_10device_ptrIKfEEEENSB_INSC_IfEEEEfNS9_4plusIvEEfEEDaPvRmT3_T4_T5_mT6_P12ihipStream_tbENKUlT_T0_E_clISt17integral_constantIbLb0EESW_IbLb1EEEEDaSS_ST_EUlSS_E_NS1_11comp_targetILNS1_3genE8ELNS1_11target_archE1030ELNS1_3gpuE2ELNS1_3repE0EEENS1_30default_config_static_selectorELNS0_4arch9wavefront6targetE1EEEvT1_, .Lfunc_end75-_ZN7rocprim17ROCPRIM_400000_NS6detail17trampoline_kernelINS0_14default_configENS1_20scan_config_selectorIfEEZZNS1_9scan_implILNS1_25lookback_scan_determinismE0ELb1ELb1ES3_N6thrust23THRUST_200600_302600_NS6detail15normal_iteratorINS9_10device_ptrIKfEEEENSB_INSC_IfEEEEfNS9_4plusIvEEfEEDaPvRmT3_T4_T5_mT6_P12ihipStream_tbENKUlT_T0_E_clISt17integral_constantIbLb0EESW_IbLb1EEEEDaSS_ST_EUlSS_E_NS1_11comp_targetILNS1_3genE8ELNS1_11target_archE1030ELNS1_3gpuE2ELNS1_3repE0EEENS1_30default_config_static_selectorELNS0_4arch9wavefront6targetE1EEEvT1_
                                        ; -- End function
	.section	.AMDGPU.csdata,"",@progbits
; Kernel info:
; codeLenInByte = 0
; NumSgprs: 6
; NumVgprs: 0
; NumAgprs: 0
; TotalNumVgprs: 0
; ScratchSize: 0
; MemoryBound: 0
; FloatMode: 240
; IeeeMode: 1
; LDSByteSize: 0 bytes/workgroup (compile time only)
; SGPRBlocks: 0
; VGPRBlocks: 0
; NumSGPRsForWavesPerEU: 6
; NumVGPRsForWavesPerEU: 1
; AccumOffset: 4
; Occupancy: 8
; WaveLimiterHint : 0
; COMPUTE_PGM_RSRC2:SCRATCH_EN: 0
; COMPUTE_PGM_RSRC2:USER_SGPR: 2
; COMPUTE_PGM_RSRC2:TRAP_HANDLER: 0
; COMPUTE_PGM_RSRC2:TGID_X_EN: 1
; COMPUTE_PGM_RSRC2:TGID_Y_EN: 0
; COMPUTE_PGM_RSRC2:TGID_Z_EN: 0
; COMPUTE_PGM_RSRC2:TIDIG_COMP_CNT: 0
; COMPUTE_PGM_RSRC3_GFX90A:ACCUM_OFFSET: 0
; COMPUTE_PGM_RSRC3_GFX90A:TG_SPLIT: 0
	.section	.text._ZN7rocprim17ROCPRIM_400000_NS6detail17trampoline_kernelINS0_14default_configENS1_20scan_config_selectorIfEEZZNS1_9scan_implILNS1_25lookback_scan_determinismE0ELb1ELb1ES3_N6thrust23THRUST_200600_302600_NS6detail15normal_iteratorINS9_10device_ptrIKfEEEENSB_INSC_IfEEEEfNS9_4plusIvEEfEEDaPvRmT3_T4_T5_mT6_P12ihipStream_tbENKUlT_T0_E_clISt17integral_constantIbLb0EESW_IbLb1EEEEDaSS_ST_EUlSS_E0_NS1_11comp_targetILNS1_3genE0ELNS1_11target_archE4294967295ELNS1_3gpuE0ELNS1_3repE0EEENS1_30default_config_static_selectorELNS0_4arch9wavefront6targetE1EEEvT1_,"axG",@progbits,_ZN7rocprim17ROCPRIM_400000_NS6detail17trampoline_kernelINS0_14default_configENS1_20scan_config_selectorIfEEZZNS1_9scan_implILNS1_25lookback_scan_determinismE0ELb1ELb1ES3_N6thrust23THRUST_200600_302600_NS6detail15normal_iteratorINS9_10device_ptrIKfEEEENSB_INSC_IfEEEEfNS9_4plusIvEEfEEDaPvRmT3_T4_T5_mT6_P12ihipStream_tbENKUlT_T0_E_clISt17integral_constantIbLb0EESW_IbLb1EEEEDaSS_ST_EUlSS_E0_NS1_11comp_targetILNS1_3genE0ELNS1_11target_archE4294967295ELNS1_3gpuE0ELNS1_3repE0EEENS1_30default_config_static_selectorELNS0_4arch9wavefront6targetE1EEEvT1_,comdat
	.protected	_ZN7rocprim17ROCPRIM_400000_NS6detail17trampoline_kernelINS0_14default_configENS1_20scan_config_selectorIfEEZZNS1_9scan_implILNS1_25lookback_scan_determinismE0ELb1ELb1ES3_N6thrust23THRUST_200600_302600_NS6detail15normal_iteratorINS9_10device_ptrIKfEEEENSB_INSC_IfEEEEfNS9_4plusIvEEfEEDaPvRmT3_T4_T5_mT6_P12ihipStream_tbENKUlT_T0_E_clISt17integral_constantIbLb0EESW_IbLb1EEEEDaSS_ST_EUlSS_E0_NS1_11comp_targetILNS1_3genE0ELNS1_11target_archE4294967295ELNS1_3gpuE0ELNS1_3repE0EEENS1_30default_config_static_selectorELNS0_4arch9wavefront6targetE1EEEvT1_ ; -- Begin function _ZN7rocprim17ROCPRIM_400000_NS6detail17trampoline_kernelINS0_14default_configENS1_20scan_config_selectorIfEEZZNS1_9scan_implILNS1_25lookback_scan_determinismE0ELb1ELb1ES3_N6thrust23THRUST_200600_302600_NS6detail15normal_iteratorINS9_10device_ptrIKfEEEENSB_INSC_IfEEEEfNS9_4plusIvEEfEEDaPvRmT3_T4_T5_mT6_P12ihipStream_tbENKUlT_T0_E_clISt17integral_constantIbLb0EESW_IbLb1EEEEDaSS_ST_EUlSS_E0_NS1_11comp_targetILNS1_3genE0ELNS1_11target_archE4294967295ELNS1_3gpuE0ELNS1_3repE0EEENS1_30default_config_static_selectorELNS0_4arch9wavefront6targetE1EEEvT1_
	.globl	_ZN7rocprim17ROCPRIM_400000_NS6detail17trampoline_kernelINS0_14default_configENS1_20scan_config_selectorIfEEZZNS1_9scan_implILNS1_25lookback_scan_determinismE0ELb1ELb1ES3_N6thrust23THRUST_200600_302600_NS6detail15normal_iteratorINS9_10device_ptrIKfEEEENSB_INSC_IfEEEEfNS9_4plusIvEEfEEDaPvRmT3_T4_T5_mT6_P12ihipStream_tbENKUlT_T0_E_clISt17integral_constantIbLb0EESW_IbLb1EEEEDaSS_ST_EUlSS_E0_NS1_11comp_targetILNS1_3genE0ELNS1_11target_archE4294967295ELNS1_3gpuE0ELNS1_3repE0EEENS1_30default_config_static_selectorELNS0_4arch9wavefront6targetE1EEEvT1_
	.p2align	8
	.type	_ZN7rocprim17ROCPRIM_400000_NS6detail17trampoline_kernelINS0_14default_configENS1_20scan_config_selectorIfEEZZNS1_9scan_implILNS1_25lookback_scan_determinismE0ELb1ELb1ES3_N6thrust23THRUST_200600_302600_NS6detail15normal_iteratorINS9_10device_ptrIKfEEEENSB_INSC_IfEEEEfNS9_4plusIvEEfEEDaPvRmT3_T4_T5_mT6_P12ihipStream_tbENKUlT_T0_E_clISt17integral_constantIbLb0EESW_IbLb1EEEEDaSS_ST_EUlSS_E0_NS1_11comp_targetILNS1_3genE0ELNS1_11target_archE4294967295ELNS1_3gpuE0ELNS1_3repE0EEENS1_30default_config_static_selectorELNS0_4arch9wavefront6targetE1EEEvT1_,@function
_ZN7rocprim17ROCPRIM_400000_NS6detail17trampoline_kernelINS0_14default_configENS1_20scan_config_selectorIfEEZZNS1_9scan_implILNS1_25lookback_scan_determinismE0ELb1ELb1ES3_N6thrust23THRUST_200600_302600_NS6detail15normal_iteratorINS9_10device_ptrIKfEEEENSB_INSC_IfEEEEfNS9_4plusIvEEfEEDaPvRmT3_T4_T5_mT6_P12ihipStream_tbENKUlT_T0_E_clISt17integral_constantIbLb0EESW_IbLb1EEEEDaSS_ST_EUlSS_E0_NS1_11comp_targetILNS1_3genE0ELNS1_11target_archE4294967295ELNS1_3gpuE0ELNS1_3repE0EEENS1_30default_config_static_selectorELNS0_4arch9wavefront6targetE1EEEvT1_: ; @_ZN7rocprim17ROCPRIM_400000_NS6detail17trampoline_kernelINS0_14default_configENS1_20scan_config_selectorIfEEZZNS1_9scan_implILNS1_25lookback_scan_determinismE0ELb1ELb1ES3_N6thrust23THRUST_200600_302600_NS6detail15normal_iteratorINS9_10device_ptrIKfEEEENSB_INSC_IfEEEEfNS9_4plusIvEEfEEDaPvRmT3_T4_T5_mT6_P12ihipStream_tbENKUlT_T0_E_clISt17integral_constantIbLb0EESW_IbLb1EEEEDaSS_ST_EUlSS_E0_NS1_11comp_targetILNS1_3genE0ELNS1_11target_archE4294967295ELNS1_3gpuE0ELNS1_3repE0EEENS1_30default_config_static_selectorELNS0_4arch9wavefront6targetE1EEEvT1_
; %bb.0:
	.section	.rodata,"a",@progbits
	.p2align	6, 0x0
	.amdhsa_kernel _ZN7rocprim17ROCPRIM_400000_NS6detail17trampoline_kernelINS0_14default_configENS1_20scan_config_selectorIfEEZZNS1_9scan_implILNS1_25lookback_scan_determinismE0ELb1ELb1ES3_N6thrust23THRUST_200600_302600_NS6detail15normal_iteratorINS9_10device_ptrIKfEEEENSB_INSC_IfEEEEfNS9_4plusIvEEfEEDaPvRmT3_T4_T5_mT6_P12ihipStream_tbENKUlT_T0_E_clISt17integral_constantIbLb0EESW_IbLb1EEEEDaSS_ST_EUlSS_E0_NS1_11comp_targetILNS1_3genE0ELNS1_11target_archE4294967295ELNS1_3gpuE0ELNS1_3repE0EEENS1_30default_config_static_selectorELNS0_4arch9wavefront6targetE1EEEvT1_
		.amdhsa_group_segment_fixed_size 0
		.amdhsa_private_segment_fixed_size 0
		.amdhsa_kernarg_size 32
		.amdhsa_user_sgpr_count 2
		.amdhsa_user_sgpr_dispatch_ptr 0
		.amdhsa_user_sgpr_queue_ptr 0
		.amdhsa_user_sgpr_kernarg_segment_ptr 1
		.amdhsa_user_sgpr_dispatch_id 0
		.amdhsa_user_sgpr_kernarg_preload_length 0
		.amdhsa_user_sgpr_kernarg_preload_offset 0
		.amdhsa_user_sgpr_private_segment_size 0
		.amdhsa_uses_dynamic_stack 0
		.amdhsa_enable_private_segment 0
		.amdhsa_system_sgpr_workgroup_id_x 1
		.amdhsa_system_sgpr_workgroup_id_y 0
		.amdhsa_system_sgpr_workgroup_id_z 0
		.amdhsa_system_sgpr_workgroup_info 0
		.amdhsa_system_vgpr_workitem_id 0
		.amdhsa_next_free_vgpr 1
		.amdhsa_next_free_sgpr 0
		.amdhsa_accum_offset 4
		.amdhsa_reserve_vcc 0
		.amdhsa_float_round_mode_32 0
		.amdhsa_float_round_mode_16_64 0
		.amdhsa_float_denorm_mode_32 3
		.amdhsa_float_denorm_mode_16_64 3
		.amdhsa_dx10_clamp 1
		.amdhsa_ieee_mode 1
		.amdhsa_fp16_overflow 0
		.amdhsa_tg_split 0
		.amdhsa_exception_fp_ieee_invalid_op 0
		.amdhsa_exception_fp_denorm_src 0
		.amdhsa_exception_fp_ieee_div_zero 0
		.amdhsa_exception_fp_ieee_overflow 0
		.amdhsa_exception_fp_ieee_underflow 0
		.amdhsa_exception_fp_ieee_inexact 0
		.amdhsa_exception_int_div_zero 0
	.end_amdhsa_kernel
	.section	.text._ZN7rocprim17ROCPRIM_400000_NS6detail17trampoline_kernelINS0_14default_configENS1_20scan_config_selectorIfEEZZNS1_9scan_implILNS1_25lookback_scan_determinismE0ELb1ELb1ES3_N6thrust23THRUST_200600_302600_NS6detail15normal_iteratorINS9_10device_ptrIKfEEEENSB_INSC_IfEEEEfNS9_4plusIvEEfEEDaPvRmT3_T4_T5_mT6_P12ihipStream_tbENKUlT_T0_E_clISt17integral_constantIbLb0EESW_IbLb1EEEEDaSS_ST_EUlSS_E0_NS1_11comp_targetILNS1_3genE0ELNS1_11target_archE4294967295ELNS1_3gpuE0ELNS1_3repE0EEENS1_30default_config_static_selectorELNS0_4arch9wavefront6targetE1EEEvT1_,"axG",@progbits,_ZN7rocprim17ROCPRIM_400000_NS6detail17trampoline_kernelINS0_14default_configENS1_20scan_config_selectorIfEEZZNS1_9scan_implILNS1_25lookback_scan_determinismE0ELb1ELb1ES3_N6thrust23THRUST_200600_302600_NS6detail15normal_iteratorINS9_10device_ptrIKfEEEENSB_INSC_IfEEEEfNS9_4plusIvEEfEEDaPvRmT3_T4_T5_mT6_P12ihipStream_tbENKUlT_T0_E_clISt17integral_constantIbLb0EESW_IbLb1EEEEDaSS_ST_EUlSS_E0_NS1_11comp_targetILNS1_3genE0ELNS1_11target_archE4294967295ELNS1_3gpuE0ELNS1_3repE0EEENS1_30default_config_static_selectorELNS0_4arch9wavefront6targetE1EEEvT1_,comdat
.Lfunc_end76:
	.size	_ZN7rocprim17ROCPRIM_400000_NS6detail17trampoline_kernelINS0_14default_configENS1_20scan_config_selectorIfEEZZNS1_9scan_implILNS1_25lookback_scan_determinismE0ELb1ELb1ES3_N6thrust23THRUST_200600_302600_NS6detail15normal_iteratorINS9_10device_ptrIKfEEEENSB_INSC_IfEEEEfNS9_4plusIvEEfEEDaPvRmT3_T4_T5_mT6_P12ihipStream_tbENKUlT_T0_E_clISt17integral_constantIbLb0EESW_IbLb1EEEEDaSS_ST_EUlSS_E0_NS1_11comp_targetILNS1_3genE0ELNS1_11target_archE4294967295ELNS1_3gpuE0ELNS1_3repE0EEENS1_30default_config_static_selectorELNS0_4arch9wavefront6targetE1EEEvT1_, .Lfunc_end76-_ZN7rocprim17ROCPRIM_400000_NS6detail17trampoline_kernelINS0_14default_configENS1_20scan_config_selectorIfEEZZNS1_9scan_implILNS1_25lookback_scan_determinismE0ELb1ELb1ES3_N6thrust23THRUST_200600_302600_NS6detail15normal_iteratorINS9_10device_ptrIKfEEEENSB_INSC_IfEEEEfNS9_4plusIvEEfEEDaPvRmT3_T4_T5_mT6_P12ihipStream_tbENKUlT_T0_E_clISt17integral_constantIbLb0EESW_IbLb1EEEEDaSS_ST_EUlSS_E0_NS1_11comp_targetILNS1_3genE0ELNS1_11target_archE4294967295ELNS1_3gpuE0ELNS1_3repE0EEENS1_30default_config_static_selectorELNS0_4arch9wavefront6targetE1EEEvT1_
                                        ; -- End function
	.section	.AMDGPU.csdata,"",@progbits
; Kernel info:
; codeLenInByte = 0
; NumSgprs: 6
; NumVgprs: 0
; NumAgprs: 0
; TotalNumVgprs: 0
; ScratchSize: 0
; MemoryBound: 0
; FloatMode: 240
; IeeeMode: 1
; LDSByteSize: 0 bytes/workgroup (compile time only)
; SGPRBlocks: 0
; VGPRBlocks: 0
; NumSGPRsForWavesPerEU: 6
; NumVGPRsForWavesPerEU: 1
; AccumOffset: 4
; Occupancy: 8
; WaveLimiterHint : 0
; COMPUTE_PGM_RSRC2:SCRATCH_EN: 0
; COMPUTE_PGM_RSRC2:USER_SGPR: 2
; COMPUTE_PGM_RSRC2:TRAP_HANDLER: 0
; COMPUTE_PGM_RSRC2:TGID_X_EN: 1
; COMPUTE_PGM_RSRC2:TGID_Y_EN: 0
; COMPUTE_PGM_RSRC2:TGID_Z_EN: 0
; COMPUTE_PGM_RSRC2:TIDIG_COMP_CNT: 0
; COMPUTE_PGM_RSRC3_GFX90A:ACCUM_OFFSET: 0
; COMPUTE_PGM_RSRC3_GFX90A:TG_SPLIT: 0
	.section	.text._ZN7rocprim17ROCPRIM_400000_NS6detail17trampoline_kernelINS0_14default_configENS1_20scan_config_selectorIfEEZZNS1_9scan_implILNS1_25lookback_scan_determinismE0ELb1ELb1ES3_N6thrust23THRUST_200600_302600_NS6detail15normal_iteratorINS9_10device_ptrIKfEEEENSB_INSC_IfEEEEfNS9_4plusIvEEfEEDaPvRmT3_T4_T5_mT6_P12ihipStream_tbENKUlT_T0_E_clISt17integral_constantIbLb0EESW_IbLb1EEEEDaSS_ST_EUlSS_E0_NS1_11comp_targetILNS1_3genE5ELNS1_11target_archE942ELNS1_3gpuE9ELNS1_3repE0EEENS1_30default_config_static_selectorELNS0_4arch9wavefront6targetE1EEEvT1_,"axG",@progbits,_ZN7rocprim17ROCPRIM_400000_NS6detail17trampoline_kernelINS0_14default_configENS1_20scan_config_selectorIfEEZZNS1_9scan_implILNS1_25lookback_scan_determinismE0ELb1ELb1ES3_N6thrust23THRUST_200600_302600_NS6detail15normal_iteratorINS9_10device_ptrIKfEEEENSB_INSC_IfEEEEfNS9_4plusIvEEfEEDaPvRmT3_T4_T5_mT6_P12ihipStream_tbENKUlT_T0_E_clISt17integral_constantIbLb0EESW_IbLb1EEEEDaSS_ST_EUlSS_E0_NS1_11comp_targetILNS1_3genE5ELNS1_11target_archE942ELNS1_3gpuE9ELNS1_3repE0EEENS1_30default_config_static_selectorELNS0_4arch9wavefront6targetE1EEEvT1_,comdat
	.protected	_ZN7rocprim17ROCPRIM_400000_NS6detail17trampoline_kernelINS0_14default_configENS1_20scan_config_selectorIfEEZZNS1_9scan_implILNS1_25lookback_scan_determinismE0ELb1ELb1ES3_N6thrust23THRUST_200600_302600_NS6detail15normal_iteratorINS9_10device_ptrIKfEEEENSB_INSC_IfEEEEfNS9_4plusIvEEfEEDaPvRmT3_T4_T5_mT6_P12ihipStream_tbENKUlT_T0_E_clISt17integral_constantIbLb0EESW_IbLb1EEEEDaSS_ST_EUlSS_E0_NS1_11comp_targetILNS1_3genE5ELNS1_11target_archE942ELNS1_3gpuE9ELNS1_3repE0EEENS1_30default_config_static_selectorELNS0_4arch9wavefront6targetE1EEEvT1_ ; -- Begin function _ZN7rocprim17ROCPRIM_400000_NS6detail17trampoline_kernelINS0_14default_configENS1_20scan_config_selectorIfEEZZNS1_9scan_implILNS1_25lookback_scan_determinismE0ELb1ELb1ES3_N6thrust23THRUST_200600_302600_NS6detail15normal_iteratorINS9_10device_ptrIKfEEEENSB_INSC_IfEEEEfNS9_4plusIvEEfEEDaPvRmT3_T4_T5_mT6_P12ihipStream_tbENKUlT_T0_E_clISt17integral_constantIbLb0EESW_IbLb1EEEEDaSS_ST_EUlSS_E0_NS1_11comp_targetILNS1_3genE5ELNS1_11target_archE942ELNS1_3gpuE9ELNS1_3repE0EEENS1_30default_config_static_selectorELNS0_4arch9wavefront6targetE1EEEvT1_
	.globl	_ZN7rocprim17ROCPRIM_400000_NS6detail17trampoline_kernelINS0_14default_configENS1_20scan_config_selectorIfEEZZNS1_9scan_implILNS1_25lookback_scan_determinismE0ELb1ELb1ES3_N6thrust23THRUST_200600_302600_NS6detail15normal_iteratorINS9_10device_ptrIKfEEEENSB_INSC_IfEEEEfNS9_4plusIvEEfEEDaPvRmT3_T4_T5_mT6_P12ihipStream_tbENKUlT_T0_E_clISt17integral_constantIbLb0EESW_IbLb1EEEEDaSS_ST_EUlSS_E0_NS1_11comp_targetILNS1_3genE5ELNS1_11target_archE942ELNS1_3gpuE9ELNS1_3repE0EEENS1_30default_config_static_selectorELNS0_4arch9wavefront6targetE1EEEvT1_
	.p2align	8
	.type	_ZN7rocprim17ROCPRIM_400000_NS6detail17trampoline_kernelINS0_14default_configENS1_20scan_config_selectorIfEEZZNS1_9scan_implILNS1_25lookback_scan_determinismE0ELb1ELb1ES3_N6thrust23THRUST_200600_302600_NS6detail15normal_iteratorINS9_10device_ptrIKfEEEENSB_INSC_IfEEEEfNS9_4plusIvEEfEEDaPvRmT3_T4_T5_mT6_P12ihipStream_tbENKUlT_T0_E_clISt17integral_constantIbLb0EESW_IbLb1EEEEDaSS_ST_EUlSS_E0_NS1_11comp_targetILNS1_3genE5ELNS1_11target_archE942ELNS1_3gpuE9ELNS1_3repE0EEENS1_30default_config_static_selectorELNS0_4arch9wavefront6targetE1EEEvT1_,@function
_ZN7rocprim17ROCPRIM_400000_NS6detail17trampoline_kernelINS0_14default_configENS1_20scan_config_selectorIfEEZZNS1_9scan_implILNS1_25lookback_scan_determinismE0ELb1ELb1ES3_N6thrust23THRUST_200600_302600_NS6detail15normal_iteratorINS9_10device_ptrIKfEEEENSB_INSC_IfEEEEfNS9_4plusIvEEfEEDaPvRmT3_T4_T5_mT6_P12ihipStream_tbENKUlT_T0_E_clISt17integral_constantIbLb0EESW_IbLb1EEEEDaSS_ST_EUlSS_E0_NS1_11comp_targetILNS1_3genE5ELNS1_11target_archE942ELNS1_3gpuE9ELNS1_3repE0EEENS1_30default_config_static_selectorELNS0_4arch9wavefront6targetE1EEEvT1_: ; @_ZN7rocprim17ROCPRIM_400000_NS6detail17trampoline_kernelINS0_14default_configENS1_20scan_config_selectorIfEEZZNS1_9scan_implILNS1_25lookback_scan_determinismE0ELb1ELb1ES3_N6thrust23THRUST_200600_302600_NS6detail15normal_iteratorINS9_10device_ptrIKfEEEENSB_INSC_IfEEEEfNS9_4plusIvEEfEEDaPvRmT3_T4_T5_mT6_P12ihipStream_tbENKUlT_T0_E_clISt17integral_constantIbLb0EESW_IbLb1EEEEDaSS_ST_EUlSS_E0_NS1_11comp_targetILNS1_3genE5ELNS1_11target_archE942ELNS1_3gpuE9ELNS1_3repE0EEENS1_30default_config_static_selectorELNS0_4arch9wavefront6targetE1EEEvT1_
; %bb.0:
	s_load_dwordx4 s[52:55], s[0:1], 0x0
	v_lshlrev_b32_e32 v30, 2, v0
	s_waitcnt lgkmcnt(0)
	s_load_dword s33, s[52:53], 0x0
	v_cmp_gt_u32_e32 vcc, s54, v0
	s_waitcnt lgkmcnt(0)
	v_mov_b32_e32 v1, s33
	s_and_saveexec_b64 s[2:3], vcc
	s_cbranch_execz .LBB77_2
; %bb.1:
	global_load_dword v1, v30, s[52:53]
.LBB77_2:
	s_or_b64 exec, exec, s[2:3]
	v_or_b32_e32 v2, 0x100, v0
	v_cmp_gt_u32_e64 s[48:49], s54, v2
	v_mov_b32_e32 v2, s33
	s_and_saveexec_b64 s[2:3], s[48:49]
	s_cbranch_execz .LBB77_4
; %bb.3:
	global_load_dword v2, v30, s[52:53] offset:1024
.LBB77_4:
	s_or_b64 exec, exec, s[2:3]
	v_or_b32_e32 v3, 0x200, v0
	v_cmp_gt_u32_e64 s[2:3], s54, v3
	v_mov_b32_e32 v3, s33
	s_and_saveexec_b64 s[4:5], s[2:3]
	s_cbranch_execz .LBB77_6
; %bb.5:
	global_load_dword v3, v30, s[52:53] offset:2048
.LBB77_6:
	;; [unrolled: 9-line block ×3, first 2 shown]
	s_or_b64 exec, exec, s[6:7]
	v_or_b32_e32 v6, 0x400, v0
	v_cmp_gt_u32_e64 s[6:7], s54, v6
	v_mov_b32_e32 v5, s33
	s_and_saveexec_b64 s[8:9], s[6:7]
	s_cbranch_execz .LBB77_10
; %bb.9:
	v_lshlrev_b32_e32 v5, 2, v6
	global_load_dword v5, v5, s[52:53]
.LBB77_10:
	s_or_b64 exec, exec, s[8:9]
	v_or_b32_e32 v7, 0x500, v0
	v_cmp_gt_u32_e64 s[8:9], s54, v7
	v_mov_b32_e32 v6, s33
	s_and_saveexec_b64 s[10:11], s[8:9]
	s_cbranch_execz .LBB77_12
; %bb.11:
	v_lshlrev_b32_e32 v6, 2, v7
	global_load_dword v6, v6, s[52:53]
.LBB77_12:
	;; [unrolled: 10-line block ×19, first 2 shown]
	s_or_b64 exec, exec, s[46:47]
	s_load_dword s58, s[0:1], 0x10
	v_or_b32_e32 v25, 0x1700, v0
	v_cmp_gt_u32_e64 s[46:47], s54, v25
	v_mov_b32_e32 v24, s33
	s_and_saveexec_b64 s[50:51], s[46:47]
	s_cbranch_execz .LBB77_48
; %bb.47:
	v_lshlrev_b32_e32 v24, 2, v25
	global_load_dword v24, v24, s[52:53]
.LBB77_48:
	s_or_b64 exec, exec, s[50:51]
	s_movk_i32 s33, 0x5c
	s_waitcnt vmcnt(0)
	ds_write2st64_b32 v30, v1, v2 offset1:4
	ds_write2st64_b32 v30, v3, v4 offset0:8 offset1:12
	ds_write2st64_b32 v30, v5, v6 offset0:16 offset1:20
	ds_write2st64_b32 v30, v7, v8 offset0:24 offset1:28
	ds_write2st64_b32 v30, v9, v10 offset0:32 offset1:36
	ds_write2st64_b32 v30, v11, v12 offset0:40 offset1:44
	ds_write2st64_b32 v30, v13, v14 offset0:48 offset1:52
	ds_write2st64_b32 v30, v15, v16 offset0:56 offset1:60
	ds_write2st64_b32 v30, v17, v18 offset0:64 offset1:68
	ds_write2st64_b32 v30, v19, v20 offset0:72 offset1:76
	ds_write2st64_b32 v30, v21, v22 offset0:80 offset1:84
	ds_write2st64_b32 v30, v23, v24 offset0:88 offset1:92
	v_mad_u32_u24 v1, v0, s33, v30
	s_waitcnt lgkmcnt(0)
	s_barrier
	ds_read_b128 v[22:25], v1
	ds_read_b128 v[18:21], v1 offset:16
	ds_read_b128 v[14:17], v1 offset:32
	;; [unrolled: 1-line block ×5, first 2 shown]
	s_waitcnt lgkmcnt(5)
	v_add_f32_e32 v26, v22, v23
	v_add_f32_e32 v26, v26, v24
	v_add_f32_e32 v26, v26, v25
	s_waitcnt lgkmcnt(4)
	v_add_f32_e32 v26, v26, v18
	v_add_f32_e32 v26, v26, v19
	v_add_f32_e32 v26, v26, v20
	v_add_f32_e32 v26, v26, v21
	s_waitcnt lgkmcnt(3)
	v_add_f32_e32 v26, v26, v14
	;; [unrolled: 5-line block ×5, first 2 shown]
	v_add_f32_e32 v26, v26, v3
	v_add_f32_e32 v26, v26, v4
	;; [unrolled: 1-line block ×3, first 2 shown]
	v_lshrrev_b32_e32 v26, 3, v0
	v_and_b32_e32 v27, 28, v26
	v_add_u32_e32 v27, v30, v27
	v_cmp_gt_u32_e64 s[50:51], 64, v0
	s_barrier
	ds_write_b32 v27, v5
	s_waitcnt lgkmcnt(0)
	s_barrier
	s_and_saveexec_b64 s[56:57], s[50:51]
	s_cbranch_execz .LBB77_50
; %bb.49:
	v_add_lshl_u32 v31, v26, v30, 2
	ds_read2_b32 v[26:27], v31 offset1:1
	ds_read2_b32 v[28:29], v31 offset0:2 offset1:3
	v_mbcnt_lo_u32_b32 v32, -1, 0
	v_mbcnt_hi_u32_b32 v32, -1, v32
	v_and_b32_e32 v33, 15, v32
	s_waitcnt lgkmcnt(1)
	v_add_f32_e32 v27, v26, v27
	s_waitcnt lgkmcnt(0)
	v_add_f32_e32 v27, v27, v28
	v_add_f32_e32 v27, v27, v29
	v_cmp_eq_u32_e64 s[50:51], 0, v33
	v_cmp_lt_u32_e64 s[52:53], 3, v33
	v_mov_b32_dpp v28, v27 row_shr:1 row_mask:0xf bank_mask:0xf
	v_add_f32_e32 v28, v27, v28
	v_cndmask_b32_e64 v27, v28, v27, s[50:51]
	v_cmp_lt_u32_e64 s[50:51], 1, v33
	v_cmp_lt_u32_e64 s[54:55], 31, v32
	v_mov_b32_dpp v28, v27 row_shr:2 row_mask:0xf bank_mask:0xf
	v_add_f32_e32 v28, v27, v28
	v_cndmask_b32_e64 v28, v27, v28, s[50:51]
	; wave barrier
	s_nop 1
	v_mov_b32_dpp v29, v28 row_shr:4 row_mask:0xf bank_mask:0xf
	v_add_f32_e32 v29, v28, v29
	v_cndmask_b32_e64 v28, v28, v29, s[52:53]
	v_cmp_lt_u32_e64 s[52:53], 7, v33
	v_and_b32_e32 v33, 16, v32
	v_mov_b32_dpp v29, v28 row_shr:8 row_mask:0xf bank_mask:0xf
	v_add_f32_e32 v29, v28, v29
	v_cndmask_b32_e64 v28, v28, v29, s[52:53]
	v_cmp_eq_u32_e64 s[52:53], 0, v33
	s_nop 0
	v_mov_b32_dpp v29, v28 row_bcast:15 row_mask:0xf bank_mask:0xf
	v_add_f32_e32 v29, v28, v29
	v_cndmask_b32_e64 v28, v29, v28, s[52:53]
	v_cmp_lt_u32_e64 s[52:53], 15, v32
	s_or_b64 s[50:51], s[52:53], s[50:51]
	v_mov_b32_dpp v29, v28 row_bcast:31 row_mask:0xf bank_mask:0xf
	v_add_f32_e32 v29, v28, v29
	v_cndmask_b32_e64 v28, v28, v29, s[54:55]
	v_cndmask_b32_e64 v27, v27, v28, s[50:51]
	v_add_u32_e32 v28, -1, v32
	v_and_b32_e32 v29, 64, v32
	v_cmp_lt_i32_e64 s[50:51], v28, v29
	s_nop 1
	v_cndmask_b32_e64 v28, v28, v32, s[50:51]
	v_lshlrev_b32_e32 v28, 2, v28
	ds_bpermute_b32 v27, v28, v27
	v_cmp_eq_u32_e64 s[50:51], 0, v0
	s_waitcnt lgkmcnt(0)
	v_add_f32_e32 v26, v26, v27
	v_cndmask_b32_e64 v5, v26, v5, s[50:51]
	ds_write_b32 v31, v5
	; wave barrier
	ds_read2_b32 v[26:27], v31 offset0:1 offset1:2
	ds_read_b32 v28, v31 offset:12
	s_waitcnt lgkmcnt(1)
	v_add_f32_e32 v5, v5, v26
	v_add_f32_e32 v26, v5, v27
	ds_write2_b32 v31, v5, v26 offset0:1 offset1:2
	s_waitcnt lgkmcnt(1)
	v_add_f32_e32 v5, v26, v28
	ds_write_b32 v31, v5 offset:12
.LBB77_50:
	s_or_b64 exec, exec, s[56:57]
	s_load_dwordx2 s[50:51], s[0:1], 0x18
	v_cmp_ne_u32_e64 s[0:1], 0, v0
	v_mov_b32_e32 v26, s58
	s_waitcnt lgkmcnt(0)
	s_barrier
	s_and_saveexec_b64 s[52:53], s[0:1]
	s_cbranch_execz .LBB77_52
; %bb.51:
	v_add_u32_e32 v5, -1, v0
	v_lshrrev_b32_e32 v26, 5, v5
	v_add_lshl_u32 v5, v26, v5, 2
	ds_read_b32 v5, v5
	s_waitcnt lgkmcnt(0)
	v_add_f32_e32 v26, s58, v5
.LBB77_52:
	s_or_b64 exec, exec, s[52:53]
	v_add_f32_e32 v27, v22, v26
	v_add_f32_e32 v28, v23, v27
	;; [unrolled: 1-line block ×22, first 2 shown]
	s_movk_i32 s0, 0xffa4
	v_add_f32_e32 v9, v4, v8
	v_mad_i32_i24 v0, v0, s0, v1
	s_barrier
	ds_write_b128 v1, v[26:29]
	ds_write_b128 v1, v[22:25] offset:16
	ds_write_b128 v1, v[18:21] offset:32
	;; [unrolled: 1-line block ×5, first 2 shown]
	s_waitcnt lgkmcnt(0)
	s_barrier
	ds_read2st64_b32 v[22:23], v0 offset0:4 offset1:8
	ds_read2st64_b32 v[20:21], v0 offset0:12 offset1:20
	;; [unrolled: 1-line block ×10, first 2 shown]
	ds_read_b32 v24, v30 offset:20480
	ds_read2st64_b32 v[0:1], v0 offset0:88 offset1:92
	v_mov_b32_e32 v31, 0
	v_lshl_add_u64 v[2:3], s[50:51], 0, v[30:31]
	s_and_saveexec_b64 s[0:1], vcc
	s_cbranch_execnz .LBB77_77
; %bb.53:
	s_or_b64 exec, exec, s[0:1]
	s_and_saveexec_b64 s[0:1], s[48:49]
	s_cbranch_execnz .LBB77_78
.LBB77_54:
	s_or_b64 exec, exec, s[0:1]
	s_and_saveexec_b64 s[0:1], s[2:3]
	s_cbranch_execnz .LBB77_79
.LBB77_55:
	s_or_b64 exec, exec, s[0:1]
	s_and_saveexec_b64 s[0:1], s[4:5]
	s_cbranch_execnz .LBB77_80
.LBB77_56:
	s_or_b64 exec, exec, s[0:1]
	s_and_saveexec_b64 s[0:1], s[6:7]
	s_cbranch_execnz .LBB77_81
.LBB77_57:
	s_or_b64 exec, exec, s[0:1]
	s_and_saveexec_b64 s[0:1], s[8:9]
	s_cbranch_execnz .LBB77_82
.LBB77_58:
	s_or_b64 exec, exec, s[0:1]
	s_and_saveexec_b64 s[0:1], s[10:11]
	s_cbranch_execnz .LBB77_83
.LBB77_59:
	s_or_b64 exec, exec, s[0:1]
	s_and_saveexec_b64 s[0:1], s[12:13]
	s_cbranch_execnz .LBB77_84
.LBB77_60:
	s_or_b64 exec, exec, s[0:1]
	s_and_saveexec_b64 s[0:1], s[14:15]
	s_cbranch_execnz .LBB77_85
.LBB77_61:
	s_or_b64 exec, exec, s[0:1]
	s_and_saveexec_b64 s[0:1], s[16:17]
	s_cbranch_execnz .LBB77_86
.LBB77_62:
	s_or_b64 exec, exec, s[0:1]
	s_and_saveexec_b64 s[0:1], s[18:19]
	s_cbranch_execnz .LBB77_87
.LBB77_63:
	s_or_b64 exec, exec, s[0:1]
	s_and_saveexec_b64 s[0:1], s[20:21]
	s_cbranch_execnz .LBB77_88
.LBB77_64:
	s_or_b64 exec, exec, s[0:1]
	s_and_saveexec_b64 s[0:1], s[22:23]
	s_cbranch_execnz .LBB77_89
.LBB77_65:
	s_or_b64 exec, exec, s[0:1]
	s_and_saveexec_b64 s[0:1], s[24:25]
	s_cbranch_execnz .LBB77_90
.LBB77_66:
	s_or_b64 exec, exec, s[0:1]
	s_and_saveexec_b64 s[0:1], s[26:27]
	s_cbranch_execnz .LBB77_91
.LBB77_67:
	s_or_b64 exec, exec, s[0:1]
	s_and_saveexec_b64 s[0:1], s[28:29]
	s_cbranch_execnz .LBB77_92
.LBB77_68:
	s_or_b64 exec, exec, s[0:1]
	s_and_saveexec_b64 s[0:1], s[30:31]
	s_cbranch_execnz .LBB77_93
.LBB77_69:
	s_or_b64 exec, exec, s[0:1]
	s_and_saveexec_b64 s[0:1], s[34:35]
	s_cbranch_execnz .LBB77_94
.LBB77_70:
	s_or_b64 exec, exec, s[0:1]
	s_and_saveexec_b64 s[0:1], s[36:37]
	s_cbranch_execnz .LBB77_95
.LBB77_71:
	s_or_b64 exec, exec, s[0:1]
	s_and_saveexec_b64 s[0:1], s[38:39]
	s_cbranch_execnz .LBB77_96
.LBB77_72:
	s_or_b64 exec, exec, s[0:1]
	s_and_saveexec_b64 s[0:1], s[40:41]
	s_cbranch_execnz .LBB77_97
.LBB77_73:
	s_or_b64 exec, exec, s[0:1]
	s_and_saveexec_b64 s[0:1], s[42:43]
	s_cbranch_execnz .LBB77_98
.LBB77_74:
	s_or_b64 exec, exec, s[0:1]
	s_and_saveexec_b64 s[0:1], s[44:45]
	s_cbranch_execnz .LBB77_99
.LBB77_75:
	s_or_b64 exec, exec, s[0:1]
	s_and_saveexec_b64 s[0:1], s[46:47]
	s_cbranch_execnz .LBB77_100
.LBB77_76:
	s_endpgm
.LBB77_77:
	ds_read_b32 v25, v30
	s_waitcnt lgkmcnt(0)
	global_store_dword v[2:3], v25, off
	s_or_b64 exec, exec, s[0:1]
	s_and_saveexec_b64 s[0:1], s[48:49]
	s_cbranch_execz .LBB77_54
.LBB77_78:
	s_waitcnt lgkmcnt(11)
	global_store_dword v[2:3], v22, off offset:1024
	s_or_b64 exec, exec, s[0:1]
	s_and_saveexec_b64 s[0:1], s[2:3]
	s_cbranch_execz .LBB77_55
.LBB77_79:
	s_waitcnt lgkmcnt(11)
	global_store_dword v[2:3], v23, off offset:2048
	s_or_b64 exec, exec, s[0:1]
	s_and_saveexec_b64 s[0:1], s[4:5]
	s_cbranch_execz .LBB77_56
.LBB77_80:
	s_waitcnt lgkmcnt(10)
	global_store_dword v[2:3], v20, off offset:3072
	s_or_b64 exec, exec, s[0:1]
	s_and_saveexec_b64 s[0:1], s[6:7]
	s_cbranch_execz .LBB77_57
.LBB77_81:
	s_waitcnt lgkmcnt(11)
	v_add_co_u32_e32 v22, vcc, 0x1000, v2
	s_nop 1
	v_addc_co_u32_e32 v23, vcc, 0, v3, vcc
	s_waitcnt lgkmcnt(9)
	global_store_dword v[22:23], v16, off
	s_or_b64 exec, exec, s[0:1]
	s_and_saveexec_b64 s[0:1], s[8:9]
	s_cbranch_execz .LBB77_58
.LBB77_82:
	s_waitcnt lgkmcnt(11)
	v_add_co_u32_e32 v22, vcc, 0x1000, v2
	s_nop 1
	v_addc_co_u32_e32 v23, vcc, 0, v3, vcc
	s_waitcnt lgkmcnt(10)
	global_store_dword v[22:23], v21, off offset:1024
	s_or_b64 exec, exec, s[0:1]
	s_and_saveexec_b64 s[0:1], s[10:11]
	s_cbranch_execz .LBB77_59
.LBB77_83:
	s_waitcnt lgkmcnt(10)
	v_add_co_u32_e32 v20, vcc, 0x1000, v2
	s_nop 1
	v_addc_co_u32_e32 v21, vcc, 0, v3, vcc
	s_waitcnt lgkmcnt(8)
	global_store_dword v[20:21], v18, off offset:2048
	s_or_b64 exec, exec, s[0:1]
	s_and_saveexec_b64 s[0:1], s[12:13]
	s_cbranch_execz .LBB77_60
.LBB77_84:
	s_waitcnt lgkmcnt(10)
	v_add_co_u32_e32 v20, vcc, 0x1000, v2
	s_nop 1
	v_addc_co_u32_e32 v21, vcc, 0, v3, vcc
	s_waitcnt lgkmcnt(8)
	global_store_dword v[20:21], v19, off offset:3072
	s_or_b64 exec, exec, s[0:1]
	s_and_saveexec_b64 s[0:1], s[14:15]
	s_cbranch_execz .LBB77_61
.LBB77_85:
	s_waitcnt lgkmcnt(8)
	v_add_co_u32_e32 v18, vcc, 0x2000, v2
	s_nop 1
	v_addc_co_u32_e32 v19, vcc, 0, v3, vcc
	global_store_dword v[18:19], v17, off
	s_or_b64 exec, exec, s[0:1]
	s_and_saveexec_b64 s[0:1], s[16:17]
	s_cbranch_execz .LBB77_62
.LBB77_86:
	s_waitcnt lgkmcnt(9)
	v_add_co_u32_e32 v16, vcc, 0x2000, v2
	s_nop 1
	v_addc_co_u32_e32 v17, vcc, 0, v3, vcc
	s_waitcnt lgkmcnt(7)
	global_store_dword v[16:17], v14, off offset:1024
	s_or_b64 exec, exec, s[0:1]
	s_and_saveexec_b64 s[0:1], s[18:19]
	s_cbranch_execz .LBB77_63
.LBB77_87:
	s_waitcnt lgkmcnt(9)
	v_add_co_u32_e32 v16, vcc, 0x2000, v2
	s_nop 1
	v_addc_co_u32_e32 v17, vcc, 0, v3, vcc
	s_waitcnt lgkmcnt(7)
	global_store_dword v[16:17], v15, off offset:2048
	s_or_b64 exec, exec, s[0:1]
	s_and_saveexec_b64 s[0:1], s[20:21]
	s_cbranch_execz .LBB77_64
.LBB77_88:
	s_waitcnt lgkmcnt(7)
	v_add_co_u32_e32 v14, vcc, 0x2000, v2
	s_nop 1
	v_addc_co_u32_e32 v15, vcc, 0, v3, vcc
	s_waitcnt lgkmcnt(6)
	global_store_dword v[14:15], v12, off offset:3072
	s_or_b64 exec, exec, s[0:1]
	s_and_saveexec_b64 s[0:1], s[22:23]
	s_cbranch_execz .LBB77_65
.LBB77_89:
	s_waitcnt lgkmcnt(7)
	v_add_co_u32_e32 v14, vcc, 0x3000, v2
	s_nop 1
	v_addc_co_u32_e32 v15, vcc, 0, v3, vcc
	s_waitcnt lgkmcnt(5)
	global_store_dword v[14:15], v8, off
	s_or_b64 exec, exec, s[0:1]
	s_and_saveexec_b64 s[0:1], s[24:25]
	s_cbranch_execz .LBB77_66
.LBB77_90:
	s_waitcnt lgkmcnt(7)
	v_add_co_u32_e32 v14, vcc, 0x3000, v2
	s_nop 1
	v_addc_co_u32_e32 v15, vcc, 0, v3, vcc
	s_waitcnt lgkmcnt(6)
	global_store_dword v[14:15], v13, off offset:1024
	s_or_b64 exec, exec, s[0:1]
	s_and_saveexec_b64 s[0:1], s[26:27]
	s_cbranch_execz .LBB77_67
.LBB77_91:
	s_waitcnt lgkmcnt(6)
	v_add_co_u32_e32 v12, vcc, 0x3000, v2
	s_nop 1
	v_addc_co_u32_e32 v13, vcc, 0, v3, vcc
	s_waitcnt lgkmcnt(4)
	global_store_dword v[12:13], v10, off offset:2048
	s_or_b64 exec, exec, s[0:1]
	s_and_saveexec_b64 s[0:1], s[28:29]
	s_cbranch_execz .LBB77_68
.LBB77_92:
	s_waitcnt lgkmcnt(6)
	v_add_co_u32_e32 v12, vcc, 0x3000, v2
	s_nop 1
	v_addc_co_u32_e32 v13, vcc, 0, v3, vcc
	s_waitcnt lgkmcnt(4)
	global_store_dword v[12:13], v11, off offset:3072
	s_or_b64 exec, exec, s[0:1]
	s_and_saveexec_b64 s[0:1], s[30:31]
	s_cbranch_execz .LBB77_69
.LBB77_93:
	s_waitcnt lgkmcnt(4)
	v_add_co_u32_e32 v10, vcc, 0x4000, v2
	s_nop 1
	v_addc_co_u32_e32 v11, vcc, 0, v3, vcc
	global_store_dword v[10:11], v9, off
	s_or_b64 exec, exec, s[0:1]
	s_and_saveexec_b64 s[0:1], s[34:35]
	s_cbranch_execz .LBB77_70
.LBB77_94:
	s_waitcnt lgkmcnt(5)
	v_add_co_u32_e32 v8, vcc, 0x4000, v2
	s_nop 1
	v_addc_co_u32_e32 v9, vcc, 0, v3, vcc
	s_waitcnt lgkmcnt(3)
	global_store_dword v[8:9], v6, off offset:1024
	s_or_b64 exec, exec, s[0:1]
	s_and_saveexec_b64 s[0:1], s[36:37]
	s_cbranch_execz .LBB77_71
.LBB77_95:
	s_waitcnt lgkmcnt(5)
	v_add_co_u32_e32 v8, vcc, 0x4000, v2
	s_nop 1
	v_addc_co_u32_e32 v9, vcc, 0, v3, vcc
	s_waitcnt lgkmcnt(3)
	global_store_dword v[8:9], v7, off offset:2048
	s_or_b64 exec, exec, s[0:1]
	s_and_saveexec_b64 s[0:1], s[38:39]
	s_cbranch_execz .LBB77_72
.LBB77_96:
	s_waitcnt lgkmcnt(3)
	v_add_co_u32_e32 v6, vcc, 0x4000, v2
	s_nop 1
	v_addc_co_u32_e32 v7, vcc, 0, v3, vcc
	s_waitcnt lgkmcnt(2)
	global_store_dword v[6:7], v4, off offset:3072
	s_or_b64 exec, exec, s[0:1]
	s_and_saveexec_b64 s[0:1], s[40:41]
	s_cbranch_execz .LBB77_73
.LBB77_97:
	s_waitcnt lgkmcnt(3)
	v_add_co_u32_e32 v6, vcc, 0x5000, v2
	s_nop 1
	v_addc_co_u32_e32 v7, vcc, 0, v3, vcc
	s_waitcnt lgkmcnt(1)
	global_store_dword v[6:7], v24, off
	s_or_b64 exec, exec, s[0:1]
	s_and_saveexec_b64 s[0:1], s[42:43]
	s_cbranch_execz .LBB77_74
.LBB77_98:
	s_waitcnt lgkmcnt(3)
	v_add_co_u32_e32 v6, vcc, 0x5000, v2
	s_nop 1
	v_addc_co_u32_e32 v7, vcc, 0, v3, vcc
	s_waitcnt lgkmcnt(2)
	global_store_dword v[6:7], v5, off offset:1024
	s_or_b64 exec, exec, s[0:1]
	s_and_saveexec_b64 s[0:1], s[44:45]
	s_cbranch_execz .LBB77_75
.LBB77_99:
	s_waitcnt lgkmcnt(2)
	v_add_co_u32_e32 v4, vcc, 0x5000, v2
	s_nop 1
	v_addc_co_u32_e32 v5, vcc, 0, v3, vcc
	s_waitcnt lgkmcnt(0)
	global_store_dword v[4:5], v0, off offset:2048
	s_or_b64 exec, exec, s[0:1]
	s_and_saveexec_b64 s[0:1], s[46:47]
	s_cbranch_execz .LBB77_76
.LBB77_100:
	v_add_co_u32_e32 v2, vcc, 0x5000, v2
	s_nop 1
	v_addc_co_u32_e32 v3, vcc, 0, v3, vcc
	s_waitcnt lgkmcnt(0)
	global_store_dword v[2:3], v1, off offset:3072
	s_endpgm
	.section	.rodata,"a",@progbits
	.p2align	6, 0x0
	.amdhsa_kernel _ZN7rocprim17ROCPRIM_400000_NS6detail17trampoline_kernelINS0_14default_configENS1_20scan_config_selectorIfEEZZNS1_9scan_implILNS1_25lookback_scan_determinismE0ELb1ELb1ES3_N6thrust23THRUST_200600_302600_NS6detail15normal_iteratorINS9_10device_ptrIKfEEEENSB_INSC_IfEEEEfNS9_4plusIvEEfEEDaPvRmT3_T4_T5_mT6_P12ihipStream_tbENKUlT_T0_E_clISt17integral_constantIbLb0EESW_IbLb1EEEEDaSS_ST_EUlSS_E0_NS1_11comp_targetILNS1_3genE5ELNS1_11target_archE942ELNS1_3gpuE9ELNS1_3repE0EEENS1_30default_config_static_selectorELNS0_4arch9wavefront6targetE1EEEvT1_
		.amdhsa_group_segment_fixed_size 24576
		.amdhsa_private_segment_fixed_size 0
		.amdhsa_kernarg_size 32
		.amdhsa_user_sgpr_count 2
		.amdhsa_user_sgpr_dispatch_ptr 0
		.amdhsa_user_sgpr_queue_ptr 0
		.amdhsa_user_sgpr_kernarg_segment_ptr 1
		.amdhsa_user_sgpr_dispatch_id 0
		.amdhsa_user_sgpr_kernarg_preload_length 0
		.amdhsa_user_sgpr_kernarg_preload_offset 0
		.amdhsa_user_sgpr_private_segment_size 0
		.amdhsa_uses_dynamic_stack 0
		.amdhsa_enable_private_segment 0
		.amdhsa_system_sgpr_workgroup_id_x 1
		.amdhsa_system_sgpr_workgroup_id_y 0
		.amdhsa_system_sgpr_workgroup_id_z 0
		.amdhsa_system_sgpr_workgroup_info 0
		.amdhsa_system_vgpr_workitem_id 0
		.amdhsa_next_free_vgpr 34
		.amdhsa_next_free_sgpr 59
		.amdhsa_accum_offset 36
		.amdhsa_reserve_vcc 1
		.amdhsa_float_round_mode_32 0
		.amdhsa_float_round_mode_16_64 0
		.amdhsa_float_denorm_mode_32 3
		.amdhsa_float_denorm_mode_16_64 3
		.amdhsa_dx10_clamp 1
		.amdhsa_ieee_mode 1
		.amdhsa_fp16_overflow 0
		.amdhsa_tg_split 0
		.amdhsa_exception_fp_ieee_invalid_op 0
		.amdhsa_exception_fp_denorm_src 0
		.amdhsa_exception_fp_ieee_div_zero 0
		.amdhsa_exception_fp_ieee_overflow 0
		.amdhsa_exception_fp_ieee_underflow 0
		.amdhsa_exception_fp_ieee_inexact 0
		.amdhsa_exception_int_div_zero 0
	.end_amdhsa_kernel
	.section	.text._ZN7rocprim17ROCPRIM_400000_NS6detail17trampoline_kernelINS0_14default_configENS1_20scan_config_selectorIfEEZZNS1_9scan_implILNS1_25lookback_scan_determinismE0ELb1ELb1ES3_N6thrust23THRUST_200600_302600_NS6detail15normal_iteratorINS9_10device_ptrIKfEEEENSB_INSC_IfEEEEfNS9_4plusIvEEfEEDaPvRmT3_T4_T5_mT6_P12ihipStream_tbENKUlT_T0_E_clISt17integral_constantIbLb0EESW_IbLb1EEEEDaSS_ST_EUlSS_E0_NS1_11comp_targetILNS1_3genE5ELNS1_11target_archE942ELNS1_3gpuE9ELNS1_3repE0EEENS1_30default_config_static_selectorELNS0_4arch9wavefront6targetE1EEEvT1_,"axG",@progbits,_ZN7rocprim17ROCPRIM_400000_NS6detail17trampoline_kernelINS0_14default_configENS1_20scan_config_selectorIfEEZZNS1_9scan_implILNS1_25lookback_scan_determinismE0ELb1ELb1ES3_N6thrust23THRUST_200600_302600_NS6detail15normal_iteratorINS9_10device_ptrIKfEEEENSB_INSC_IfEEEEfNS9_4plusIvEEfEEDaPvRmT3_T4_T5_mT6_P12ihipStream_tbENKUlT_T0_E_clISt17integral_constantIbLb0EESW_IbLb1EEEEDaSS_ST_EUlSS_E0_NS1_11comp_targetILNS1_3genE5ELNS1_11target_archE942ELNS1_3gpuE9ELNS1_3repE0EEENS1_30default_config_static_selectorELNS0_4arch9wavefront6targetE1EEEvT1_,comdat
.Lfunc_end77:
	.size	_ZN7rocprim17ROCPRIM_400000_NS6detail17trampoline_kernelINS0_14default_configENS1_20scan_config_selectorIfEEZZNS1_9scan_implILNS1_25lookback_scan_determinismE0ELb1ELb1ES3_N6thrust23THRUST_200600_302600_NS6detail15normal_iteratorINS9_10device_ptrIKfEEEENSB_INSC_IfEEEEfNS9_4plusIvEEfEEDaPvRmT3_T4_T5_mT6_P12ihipStream_tbENKUlT_T0_E_clISt17integral_constantIbLb0EESW_IbLb1EEEEDaSS_ST_EUlSS_E0_NS1_11comp_targetILNS1_3genE5ELNS1_11target_archE942ELNS1_3gpuE9ELNS1_3repE0EEENS1_30default_config_static_selectorELNS0_4arch9wavefront6targetE1EEEvT1_, .Lfunc_end77-_ZN7rocprim17ROCPRIM_400000_NS6detail17trampoline_kernelINS0_14default_configENS1_20scan_config_selectorIfEEZZNS1_9scan_implILNS1_25lookback_scan_determinismE0ELb1ELb1ES3_N6thrust23THRUST_200600_302600_NS6detail15normal_iteratorINS9_10device_ptrIKfEEEENSB_INSC_IfEEEEfNS9_4plusIvEEfEEDaPvRmT3_T4_T5_mT6_P12ihipStream_tbENKUlT_T0_E_clISt17integral_constantIbLb0EESW_IbLb1EEEEDaSS_ST_EUlSS_E0_NS1_11comp_targetILNS1_3genE5ELNS1_11target_archE942ELNS1_3gpuE9ELNS1_3repE0EEENS1_30default_config_static_selectorELNS0_4arch9wavefront6targetE1EEEvT1_
                                        ; -- End function
	.section	.AMDGPU.csdata,"",@progbits
; Kernel info:
; codeLenInByte = 3384
; NumSgprs: 65
; NumVgprs: 34
; NumAgprs: 0
; TotalNumVgprs: 34
; ScratchSize: 0
; MemoryBound: 0
; FloatMode: 240
; IeeeMode: 1
; LDSByteSize: 24576 bytes/workgroup (compile time only)
; SGPRBlocks: 8
; VGPRBlocks: 4
; NumSGPRsForWavesPerEU: 65
; NumVGPRsForWavesPerEU: 34
; AccumOffset: 36
; Occupancy: 2
; WaveLimiterHint : 0
; COMPUTE_PGM_RSRC2:SCRATCH_EN: 0
; COMPUTE_PGM_RSRC2:USER_SGPR: 2
; COMPUTE_PGM_RSRC2:TRAP_HANDLER: 0
; COMPUTE_PGM_RSRC2:TGID_X_EN: 1
; COMPUTE_PGM_RSRC2:TGID_Y_EN: 0
; COMPUTE_PGM_RSRC2:TGID_Z_EN: 0
; COMPUTE_PGM_RSRC2:TIDIG_COMP_CNT: 0
; COMPUTE_PGM_RSRC3_GFX90A:ACCUM_OFFSET: 8
; COMPUTE_PGM_RSRC3_GFX90A:TG_SPLIT: 0
	.section	.text._ZN7rocprim17ROCPRIM_400000_NS6detail17trampoline_kernelINS0_14default_configENS1_20scan_config_selectorIfEEZZNS1_9scan_implILNS1_25lookback_scan_determinismE0ELb1ELb1ES3_N6thrust23THRUST_200600_302600_NS6detail15normal_iteratorINS9_10device_ptrIKfEEEENSB_INSC_IfEEEEfNS9_4plusIvEEfEEDaPvRmT3_T4_T5_mT6_P12ihipStream_tbENKUlT_T0_E_clISt17integral_constantIbLb0EESW_IbLb1EEEEDaSS_ST_EUlSS_E0_NS1_11comp_targetILNS1_3genE4ELNS1_11target_archE910ELNS1_3gpuE8ELNS1_3repE0EEENS1_30default_config_static_selectorELNS0_4arch9wavefront6targetE1EEEvT1_,"axG",@progbits,_ZN7rocprim17ROCPRIM_400000_NS6detail17trampoline_kernelINS0_14default_configENS1_20scan_config_selectorIfEEZZNS1_9scan_implILNS1_25lookback_scan_determinismE0ELb1ELb1ES3_N6thrust23THRUST_200600_302600_NS6detail15normal_iteratorINS9_10device_ptrIKfEEEENSB_INSC_IfEEEEfNS9_4plusIvEEfEEDaPvRmT3_T4_T5_mT6_P12ihipStream_tbENKUlT_T0_E_clISt17integral_constantIbLb0EESW_IbLb1EEEEDaSS_ST_EUlSS_E0_NS1_11comp_targetILNS1_3genE4ELNS1_11target_archE910ELNS1_3gpuE8ELNS1_3repE0EEENS1_30default_config_static_selectorELNS0_4arch9wavefront6targetE1EEEvT1_,comdat
	.protected	_ZN7rocprim17ROCPRIM_400000_NS6detail17trampoline_kernelINS0_14default_configENS1_20scan_config_selectorIfEEZZNS1_9scan_implILNS1_25lookback_scan_determinismE0ELb1ELb1ES3_N6thrust23THRUST_200600_302600_NS6detail15normal_iteratorINS9_10device_ptrIKfEEEENSB_INSC_IfEEEEfNS9_4plusIvEEfEEDaPvRmT3_T4_T5_mT6_P12ihipStream_tbENKUlT_T0_E_clISt17integral_constantIbLb0EESW_IbLb1EEEEDaSS_ST_EUlSS_E0_NS1_11comp_targetILNS1_3genE4ELNS1_11target_archE910ELNS1_3gpuE8ELNS1_3repE0EEENS1_30default_config_static_selectorELNS0_4arch9wavefront6targetE1EEEvT1_ ; -- Begin function _ZN7rocprim17ROCPRIM_400000_NS6detail17trampoline_kernelINS0_14default_configENS1_20scan_config_selectorIfEEZZNS1_9scan_implILNS1_25lookback_scan_determinismE0ELb1ELb1ES3_N6thrust23THRUST_200600_302600_NS6detail15normal_iteratorINS9_10device_ptrIKfEEEENSB_INSC_IfEEEEfNS9_4plusIvEEfEEDaPvRmT3_T4_T5_mT6_P12ihipStream_tbENKUlT_T0_E_clISt17integral_constantIbLb0EESW_IbLb1EEEEDaSS_ST_EUlSS_E0_NS1_11comp_targetILNS1_3genE4ELNS1_11target_archE910ELNS1_3gpuE8ELNS1_3repE0EEENS1_30default_config_static_selectorELNS0_4arch9wavefront6targetE1EEEvT1_
	.globl	_ZN7rocprim17ROCPRIM_400000_NS6detail17trampoline_kernelINS0_14default_configENS1_20scan_config_selectorIfEEZZNS1_9scan_implILNS1_25lookback_scan_determinismE0ELb1ELb1ES3_N6thrust23THRUST_200600_302600_NS6detail15normal_iteratorINS9_10device_ptrIKfEEEENSB_INSC_IfEEEEfNS9_4plusIvEEfEEDaPvRmT3_T4_T5_mT6_P12ihipStream_tbENKUlT_T0_E_clISt17integral_constantIbLb0EESW_IbLb1EEEEDaSS_ST_EUlSS_E0_NS1_11comp_targetILNS1_3genE4ELNS1_11target_archE910ELNS1_3gpuE8ELNS1_3repE0EEENS1_30default_config_static_selectorELNS0_4arch9wavefront6targetE1EEEvT1_
	.p2align	8
	.type	_ZN7rocprim17ROCPRIM_400000_NS6detail17trampoline_kernelINS0_14default_configENS1_20scan_config_selectorIfEEZZNS1_9scan_implILNS1_25lookback_scan_determinismE0ELb1ELb1ES3_N6thrust23THRUST_200600_302600_NS6detail15normal_iteratorINS9_10device_ptrIKfEEEENSB_INSC_IfEEEEfNS9_4plusIvEEfEEDaPvRmT3_T4_T5_mT6_P12ihipStream_tbENKUlT_T0_E_clISt17integral_constantIbLb0EESW_IbLb1EEEEDaSS_ST_EUlSS_E0_NS1_11comp_targetILNS1_3genE4ELNS1_11target_archE910ELNS1_3gpuE8ELNS1_3repE0EEENS1_30default_config_static_selectorELNS0_4arch9wavefront6targetE1EEEvT1_,@function
_ZN7rocprim17ROCPRIM_400000_NS6detail17trampoline_kernelINS0_14default_configENS1_20scan_config_selectorIfEEZZNS1_9scan_implILNS1_25lookback_scan_determinismE0ELb1ELb1ES3_N6thrust23THRUST_200600_302600_NS6detail15normal_iteratorINS9_10device_ptrIKfEEEENSB_INSC_IfEEEEfNS9_4plusIvEEfEEDaPvRmT3_T4_T5_mT6_P12ihipStream_tbENKUlT_T0_E_clISt17integral_constantIbLb0EESW_IbLb1EEEEDaSS_ST_EUlSS_E0_NS1_11comp_targetILNS1_3genE4ELNS1_11target_archE910ELNS1_3gpuE8ELNS1_3repE0EEENS1_30default_config_static_selectorELNS0_4arch9wavefront6targetE1EEEvT1_: ; @_ZN7rocprim17ROCPRIM_400000_NS6detail17trampoline_kernelINS0_14default_configENS1_20scan_config_selectorIfEEZZNS1_9scan_implILNS1_25lookback_scan_determinismE0ELb1ELb1ES3_N6thrust23THRUST_200600_302600_NS6detail15normal_iteratorINS9_10device_ptrIKfEEEENSB_INSC_IfEEEEfNS9_4plusIvEEfEEDaPvRmT3_T4_T5_mT6_P12ihipStream_tbENKUlT_T0_E_clISt17integral_constantIbLb0EESW_IbLb1EEEEDaSS_ST_EUlSS_E0_NS1_11comp_targetILNS1_3genE4ELNS1_11target_archE910ELNS1_3gpuE8ELNS1_3repE0EEENS1_30default_config_static_selectorELNS0_4arch9wavefront6targetE1EEEvT1_
; %bb.0:
	.section	.rodata,"a",@progbits
	.p2align	6, 0x0
	.amdhsa_kernel _ZN7rocprim17ROCPRIM_400000_NS6detail17trampoline_kernelINS0_14default_configENS1_20scan_config_selectorIfEEZZNS1_9scan_implILNS1_25lookback_scan_determinismE0ELb1ELb1ES3_N6thrust23THRUST_200600_302600_NS6detail15normal_iteratorINS9_10device_ptrIKfEEEENSB_INSC_IfEEEEfNS9_4plusIvEEfEEDaPvRmT3_T4_T5_mT6_P12ihipStream_tbENKUlT_T0_E_clISt17integral_constantIbLb0EESW_IbLb1EEEEDaSS_ST_EUlSS_E0_NS1_11comp_targetILNS1_3genE4ELNS1_11target_archE910ELNS1_3gpuE8ELNS1_3repE0EEENS1_30default_config_static_selectorELNS0_4arch9wavefront6targetE1EEEvT1_
		.amdhsa_group_segment_fixed_size 0
		.amdhsa_private_segment_fixed_size 0
		.amdhsa_kernarg_size 32
		.amdhsa_user_sgpr_count 2
		.amdhsa_user_sgpr_dispatch_ptr 0
		.amdhsa_user_sgpr_queue_ptr 0
		.amdhsa_user_sgpr_kernarg_segment_ptr 1
		.amdhsa_user_sgpr_dispatch_id 0
		.amdhsa_user_sgpr_kernarg_preload_length 0
		.amdhsa_user_sgpr_kernarg_preload_offset 0
		.amdhsa_user_sgpr_private_segment_size 0
		.amdhsa_uses_dynamic_stack 0
		.amdhsa_enable_private_segment 0
		.amdhsa_system_sgpr_workgroup_id_x 1
		.amdhsa_system_sgpr_workgroup_id_y 0
		.amdhsa_system_sgpr_workgroup_id_z 0
		.amdhsa_system_sgpr_workgroup_info 0
		.amdhsa_system_vgpr_workitem_id 0
		.amdhsa_next_free_vgpr 1
		.amdhsa_next_free_sgpr 0
		.amdhsa_accum_offset 4
		.amdhsa_reserve_vcc 0
		.amdhsa_float_round_mode_32 0
		.amdhsa_float_round_mode_16_64 0
		.amdhsa_float_denorm_mode_32 3
		.amdhsa_float_denorm_mode_16_64 3
		.amdhsa_dx10_clamp 1
		.amdhsa_ieee_mode 1
		.amdhsa_fp16_overflow 0
		.amdhsa_tg_split 0
		.amdhsa_exception_fp_ieee_invalid_op 0
		.amdhsa_exception_fp_denorm_src 0
		.amdhsa_exception_fp_ieee_div_zero 0
		.amdhsa_exception_fp_ieee_overflow 0
		.amdhsa_exception_fp_ieee_underflow 0
		.amdhsa_exception_fp_ieee_inexact 0
		.amdhsa_exception_int_div_zero 0
	.end_amdhsa_kernel
	.section	.text._ZN7rocprim17ROCPRIM_400000_NS6detail17trampoline_kernelINS0_14default_configENS1_20scan_config_selectorIfEEZZNS1_9scan_implILNS1_25lookback_scan_determinismE0ELb1ELb1ES3_N6thrust23THRUST_200600_302600_NS6detail15normal_iteratorINS9_10device_ptrIKfEEEENSB_INSC_IfEEEEfNS9_4plusIvEEfEEDaPvRmT3_T4_T5_mT6_P12ihipStream_tbENKUlT_T0_E_clISt17integral_constantIbLb0EESW_IbLb1EEEEDaSS_ST_EUlSS_E0_NS1_11comp_targetILNS1_3genE4ELNS1_11target_archE910ELNS1_3gpuE8ELNS1_3repE0EEENS1_30default_config_static_selectorELNS0_4arch9wavefront6targetE1EEEvT1_,"axG",@progbits,_ZN7rocprim17ROCPRIM_400000_NS6detail17trampoline_kernelINS0_14default_configENS1_20scan_config_selectorIfEEZZNS1_9scan_implILNS1_25lookback_scan_determinismE0ELb1ELb1ES3_N6thrust23THRUST_200600_302600_NS6detail15normal_iteratorINS9_10device_ptrIKfEEEENSB_INSC_IfEEEEfNS9_4plusIvEEfEEDaPvRmT3_T4_T5_mT6_P12ihipStream_tbENKUlT_T0_E_clISt17integral_constantIbLb0EESW_IbLb1EEEEDaSS_ST_EUlSS_E0_NS1_11comp_targetILNS1_3genE4ELNS1_11target_archE910ELNS1_3gpuE8ELNS1_3repE0EEENS1_30default_config_static_selectorELNS0_4arch9wavefront6targetE1EEEvT1_,comdat
.Lfunc_end78:
	.size	_ZN7rocprim17ROCPRIM_400000_NS6detail17trampoline_kernelINS0_14default_configENS1_20scan_config_selectorIfEEZZNS1_9scan_implILNS1_25lookback_scan_determinismE0ELb1ELb1ES3_N6thrust23THRUST_200600_302600_NS6detail15normal_iteratorINS9_10device_ptrIKfEEEENSB_INSC_IfEEEEfNS9_4plusIvEEfEEDaPvRmT3_T4_T5_mT6_P12ihipStream_tbENKUlT_T0_E_clISt17integral_constantIbLb0EESW_IbLb1EEEEDaSS_ST_EUlSS_E0_NS1_11comp_targetILNS1_3genE4ELNS1_11target_archE910ELNS1_3gpuE8ELNS1_3repE0EEENS1_30default_config_static_selectorELNS0_4arch9wavefront6targetE1EEEvT1_, .Lfunc_end78-_ZN7rocprim17ROCPRIM_400000_NS6detail17trampoline_kernelINS0_14default_configENS1_20scan_config_selectorIfEEZZNS1_9scan_implILNS1_25lookback_scan_determinismE0ELb1ELb1ES3_N6thrust23THRUST_200600_302600_NS6detail15normal_iteratorINS9_10device_ptrIKfEEEENSB_INSC_IfEEEEfNS9_4plusIvEEfEEDaPvRmT3_T4_T5_mT6_P12ihipStream_tbENKUlT_T0_E_clISt17integral_constantIbLb0EESW_IbLb1EEEEDaSS_ST_EUlSS_E0_NS1_11comp_targetILNS1_3genE4ELNS1_11target_archE910ELNS1_3gpuE8ELNS1_3repE0EEENS1_30default_config_static_selectorELNS0_4arch9wavefront6targetE1EEEvT1_
                                        ; -- End function
	.section	.AMDGPU.csdata,"",@progbits
; Kernel info:
; codeLenInByte = 0
; NumSgprs: 6
; NumVgprs: 0
; NumAgprs: 0
; TotalNumVgprs: 0
; ScratchSize: 0
; MemoryBound: 0
; FloatMode: 240
; IeeeMode: 1
; LDSByteSize: 0 bytes/workgroup (compile time only)
; SGPRBlocks: 0
; VGPRBlocks: 0
; NumSGPRsForWavesPerEU: 6
; NumVGPRsForWavesPerEU: 1
; AccumOffset: 4
; Occupancy: 8
; WaveLimiterHint : 0
; COMPUTE_PGM_RSRC2:SCRATCH_EN: 0
; COMPUTE_PGM_RSRC2:USER_SGPR: 2
; COMPUTE_PGM_RSRC2:TRAP_HANDLER: 0
; COMPUTE_PGM_RSRC2:TGID_X_EN: 1
; COMPUTE_PGM_RSRC2:TGID_Y_EN: 0
; COMPUTE_PGM_RSRC2:TGID_Z_EN: 0
; COMPUTE_PGM_RSRC2:TIDIG_COMP_CNT: 0
; COMPUTE_PGM_RSRC3_GFX90A:ACCUM_OFFSET: 0
; COMPUTE_PGM_RSRC3_GFX90A:TG_SPLIT: 0
	.section	.text._ZN7rocprim17ROCPRIM_400000_NS6detail17trampoline_kernelINS0_14default_configENS1_20scan_config_selectorIfEEZZNS1_9scan_implILNS1_25lookback_scan_determinismE0ELb1ELb1ES3_N6thrust23THRUST_200600_302600_NS6detail15normal_iteratorINS9_10device_ptrIKfEEEENSB_INSC_IfEEEEfNS9_4plusIvEEfEEDaPvRmT3_T4_T5_mT6_P12ihipStream_tbENKUlT_T0_E_clISt17integral_constantIbLb0EESW_IbLb1EEEEDaSS_ST_EUlSS_E0_NS1_11comp_targetILNS1_3genE3ELNS1_11target_archE908ELNS1_3gpuE7ELNS1_3repE0EEENS1_30default_config_static_selectorELNS0_4arch9wavefront6targetE1EEEvT1_,"axG",@progbits,_ZN7rocprim17ROCPRIM_400000_NS6detail17trampoline_kernelINS0_14default_configENS1_20scan_config_selectorIfEEZZNS1_9scan_implILNS1_25lookback_scan_determinismE0ELb1ELb1ES3_N6thrust23THRUST_200600_302600_NS6detail15normal_iteratorINS9_10device_ptrIKfEEEENSB_INSC_IfEEEEfNS9_4plusIvEEfEEDaPvRmT3_T4_T5_mT6_P12ihipStream_tbENKUlT_T0_E_clISt17integral_constantIbLb0EESW_IbLb1EEEEDaSS_ST_EUlSS_E0_NS1_11comp_targetILNS1_3genE3ELNS1_11target_archE908ELNS1_3gpuE7ELNS1_3repE0EEENS1_30default_config_static_selectorELNS0_4arch9wavefront6targetE1EEEvT1_,comdat
	.protected	_ZN7rocprim17ROCPRIM_400000_NS6detail17trampoline_kernelINS0_14default_configENS1_20scan_config_selectorIfEEZZNS1_9scan_implILNS1_25lookback_scan_determinismE0ELb1ELb1ES3_N6thrust23THRUST_200600_302600_NS6detail15normal_iteratorINS9_10device_ptrIKfEEEENSB_INSC_IfEEEEfNS9_4plusIvEEfEEDaPvRmT3_T4_T5_mT6_P12ihipStream_tbENKUlT_T0_E_clISt17integral_constantIbLb0EESW_IbLb1EEEEDaSS_ST_EUlSS_E0_NS1_11comp_targetILNS1_3genE3ELNS1_11target_archE908ELNS1_3gpuE7ELNS1_3repE0EEENS1_30default_config_static_selectorELNS0_4arch9wavefront6targetE1EEEvT1_ ; -- Begin function _ZN7rocprim17ROCPRIM_400000_NS6detail17trampoline_kernelINS0_14default_configENS1_20scan_config_selectorIfEEZZNS1_9scan_implILNS1_25lookback_scan_determinismE0ELb1ELb1ES3_N6thrust23THRUST_200600_302600_NS6detail15normal_iteratorINS9_10device_ptrIKfEEEENSB_INSC_IfEEEEfNS9_4plusIvEEfEEDaPvRmT3_T4_T5_mT6_P12ihipStream_tbENKUlT_T0_E_clISt17integral_constantIbLb0EESW_IbLb1EEEEDaSS_ST_EUlSS_E0_NS1_11comp_targetILNS1_3genE3ELNS1_11target_archE908ELNS1_3gpuE7ELNS1_3repE0EEENS1_30default_config_static_selectorELNS0_4arch9wavefront6targetE1EEEvT1_
	.globl	_ZN7rocprim17ROCPRIM_400000_NS6detail17trampoline_kernelINS0_14default_configENS1_20scan_config_selectorIfEEZZNS1_9scan_implILNS1_25lookback_scan_determinismE0ELb1ELb1ES3_N6thrust23THRUST_200600_302600_NS6detail15normal_iteratorINS9_10device_ptrIKfEEEENSB_INSC_IfEEEEfNS9_4plusIvEEfEEDaPvRmT3_T4_T5_mT6_P12ihipStream_tbENKUlT_T0_E_clISt17integral_constantIbLb0EESW_IbLb1EEEEDaSS_ST_EUlSS_E0_NS1_11comp_targetILNS1_3genE3ELNS1_11target_archE908ELNS1_3gpuE7ELNS1_3repE0EEENS1_30default_config_static_selectorELNS0_4arch9wavefront6targetE1EEEvT1_
	.p2align	8
	.type	_ZN7rocprim17ROCPRIM_400000_NS6detail17trampoline_kernelINS0_14default_configENS1_20scan_config_selectorIfEEZZNS1_9scan_implILNS1_25lookback_scan_determinismE0ELb1ELb1ES3_N6thrust23THRUST_200600_302600_NS6detail15normal_iteratorINS9_10device_ptrIKfEEEENSB_INSC_IfEEEEfNS9_4plusIvEEfEEDaPvRmT3_T4_T5_mT6_P12ihipStream_tbENKUlT_T0_E_clISt17integral_constantIbLb0EESW_IbLb1EEEEDaSS_ST_EUlSS_E0_NS1_11comp_targetILNS1_3genE3ELNS1_11target_archE908ELNS1_3gpuE7ELNS1_3repE0EEENS1_30default_config_static_selectorELNS0_4arch9wavefront6targetE1EEEvT1_,@function
_ZN7rocprim17ROCPRIM_400000_NS6detail17trampoline_kernelINS0_14default_configENS1_20scan_config_selectorIfEEZZNS1_9scan_implILNS1_25lookback_scan_determinismE0ELb1ELb1ES3_N6thrust23THRUST_200600_302600_NS6detail15normal_iteratorINS9_10device_ptrIKfEEEENSB_INSC_IfEEEEfNS9_4plusIvEEfEEDaPvRmT3_T4_T5_mT6_P12ihipStream_tbENKUlT_T0_E_clISt17integral_constantIbLb0EESW_IbLb1EEEEDaSS_ST_EUlSS_E0_NS1_11comp_targetILNS1_3genE3ELNS1_11target_archE908ELNS1_3gpuE7ELNS1_3repE0EEENS1_30default_config_static_selectorELNS0_4arch9wavefront6targetE1EEEvT1_: ; @_ZN7rocprim17ROCPRIM_400000_NS6detail17trampoline_kernelINS0_14default_configENS1_20scan_config_selectorIfEEZZNS1_9scan_implILNS1_25lookback_scan_determinismE0ELb1ELb1ES3_N6thrust23THRUST_200600_302600_NS6detail15normal_iteratorINS9_10device_ptrIKfEEEENSB_INSC_IfEEEEfNS9_4plusIvEEfEEDaPvRmT3_T4_T5_mT6_P12ihipStream_tbENKUlT_T0_E_clISt17integral_constantIbLb0EESW_IbLb1EEEEDaSS_ST_EUlSS_E0_NS1_11comp_targetILNS1_3genE3ELNS1_11target_archE908ELNS1_3gpuE7ELNS1_3repE0EEENS1_30default_config_static_selectorELNS0_4arch9wavefront6targetE1EEEvT1_
; %bb.0:
	.section	.rodata,"a",@progbits
	.p2align	6, 0x0
	.amdhsa_kernel _ZN7rocprim17ROCPRIM_400000_NS6detail17trampoline_kernelINS0_14default_configENS1_20scan_config_selectorIfEEZZNS1_9scan_implILNS1_25lookback_scan_determinismE0ELb1ELb1ES3_N6thrust23THRUST_200600_302600_NS6detail15normal_iteratorINS9_10device_ptrIKfEEEENSB_INSC_IfEEEEfNS9_4plusIvEEfEEDaPvRmT3_T4_T5_mT6_P12ihipStream_tbENKUlT_T0_E_clISt17integral_constantIbLb0EESW_IbLb1EEEEDaSS_ST_EUlSS_E0_NS1_11comp_targetILNS1_3genE3ELNS1_11target_archE908ELNS1_3gpuE7ELNS1_3repE0EEENS1_30default_config_static_selectorELNS0_4arch9wavefront6targetE1EEEvT1_
		.amdhsa_group_segment_fixed_size 0
		.amdhsa_private_segment_fixed_size 0
		.amdhsa_kernarg_size 32
		.amdhsa_user_sgpr_count 2
		.amdhsa_user_sgpr_dispatch_ptr 0
		.amdhsa_user_sgpr_queue_ptr 0
		.amdhsa_user_sgpr_kernarg_segment_ptr 1
		.amdhsa_user_sgpr_dispatch_id 0
		.amdhsa_user_sgpr_kernarg_preload_length 0
		.amdhsa_user_sgpr_kernarg_preload_offset 0
		.amdhsa_user_sgpr_private_segment_size 0
		.amdhsa_uses_dynamic_stack 0
		.amdhsa_enable_private_segment 0
		.amdhsa_system_sgpr_workgroup_id_x 1
		.amdhsa_system_sgpr_workgroup_id_y 0
		.amdhsa_system_sgpr_workgroup_id_z 0
		.amdhsa_system_sgpr_workgroup_info 0
		.amdhsa_system_vgpr_workitem_id 0
		.amdhsa_next_free_vgpr 1
		.amdhsa_next_free_sgpr 0
		.amdhsa_accum_offset 4
		.amdhsa_reserve_vcc 0
		.amdhsa_float_round_mode_32 0
		.amdhsa_float_round_mode_16_64 0
		.amdhsa_float_denorm_mode_32 3
		.amdhsa_float_denorm_mode_16_64 3
		.amdhsa_dx10_clamp 1
		.amdhsa_ieee_mode 1
		.amdhsa_fp16_overflow 0
		.amdhsa_tg_split 0
		.amdhsa_exception_fp_ieee_invalid_op 0
		.amdhsa_exception_fp_denorm_src 0
		.amdhsa_exception_fp_ieee_div_zero 0
		.amdhsa_exception_fp_ieee_overflow 0
		.amdhsa_exception_fp_ieee_underflow 0
		.amdhsa_exception_fp_ieee_inexact 0
		.amdhsa_exception_int_div_zero 0
	.end_amdhsa_kernel
	.section	.text._ZN7rocprim17ROCPRIM_400000_NS6detail17trampoline_kernelINS0_14default_configENS1_20scan_config_selectorIfEEZZNS1_9scan_implILNS1_25lookback_scan_determinismE0ELb1ELb1ES3_N6thrust23THRUST_200600_302600_NS6detail15normal_iteratorINS9_10device_ptrIKfEEEENSB_INSC_IfEEEEfNS9_4plusIvEEfEEDaPvRmT3_T4_T5_mT6_P12ihipStream_tbENKUlT_T0_E_clISt17integral_constantIbLb0EESW_IbLb1EEEEDaSS_ST_EUlSS_E0_NS1_11comp_targetILNS1_3genE3ELNS1_11target_archE908ELNS1_3gpuE7ELNS1_3repE0EEENS1_30default_config_static_selectorELNS0_4arch9wavefront6targetE1EEEvT1_,"axG",@progbits,_ZN7rocprim17ROCPRIM_400000_NS6detail17trampoline_kernelINS0_14default_configENS1_20scan_config_selectorIfEEZZNS1_9scan_implILNS1_25lookback_scan_determinismE0ELb1ELb1ES3_N6thrust23THRUST_200600_302600_NS6detail15normal_iteratorINS9_10device_ptrIKfEEEENSB_INSC_IfEEEEfNS9_4plusIvEEfEEDaPvRmT3_T4_T5_mT6_P12ihipStream_tbENKUlT_T0_E_clISt17integral_constantIbLb0EESW_IbLb1EEEEDaSS_ST_EUlSS_E0_NS1_11comp_targetILNS1_3genE3ELNS1_11target_archE908ELNS1_3gpuE7ELNS1_3repE0EEENS1_30default_config_static_selectorELNS0_4arch9wavefront6targetE1EEEvT1_,comdat
.Lfunc_end79:
	.size	_ZN7rocprim17ROCPRIM_400000_NS6detail17trampoline_kernelINS0_14default_configENS1_20scan_config_selectorIfEEZZNS1_9scan_implILNS1_25lookback_scan_determinismE0ELb1ELb1ES3_N6thrust23THRUST_200600_302600_NS6detail15normal_iteratorINS9_10device_ptrIKfEEEENSB_INSC_IfEEEEfNS9_4plusIvEEfEEDaPvRmT3_T4_T5_mT6_P12ihipStream_tbENKUlT_T0_E_clISt17integral_constantIbLb0EESW_IbLb1EEEEDaSS_ST_EUlSS_E0_NS1_11comp_targetILNS1_3genE3ELNS1_11target_archE908ELNS1_3gpuE7ELNS1_3repE0EEENS1_30default_config_static_selectorELNS0_4arch9wavefront6targetE1EEEvT1_, .Lfunc_end79-_ZN7rocprim17ROCPRIM_400000_NS6detail17trampoline_kernelINS0_14default_configENS1_20scan_config_selectorIfEEZZNS1_9scan_implILNS1_25lookback_scan_determinismE0ELb1ELb1ES3_N6thrust23THRUST_200600_302600_NS6detail15normal_iteratorINS9_10device_ptrIKfEEEENSB_INSC_IfEEEEfNS9_4plusIvEEfEEDaPvRmT3_T4_T5_mT6_P12ihipStream_tbENKUlT_T0_E_clISt17integral_constantIbLb0EESW_IbLb1EEEEDaSS_ST_EUlSS_E0_NS1_11comp_targetILNS1_3genE3ELNS1_11target_archE908ELNS1_3gpuE7ELNS1_3repE0EEENS1_30default_config_static_selectorELNS0_4arch9wavefront6targetE1EEEvT1_
                                        ; -- End function
	.section	.AMDGPU.csdata,"",@progbits
; Kernel info:
; codeLenInByte = 0
; NumSgprs: 6
; NumVgprs: 0
; NumAgprs: 0
; TotalNumVgprs: 0
; ScratchSize: 0
; MemoryBound: 0
; FloatMode: 240
; IeeeMode: 1
; LDSByteSize: 0 bytes/workgroup (compile time only)
; SGPRBlocks: 0
; VGPRBlocks: 0
; NumSGPRsForWavesPerEU: 6
; NumVGPRsForWavesPerEU: 1
; AccumOffset: 4
; Occupancy: 8
; WaveLimiterHint : 0
; COMPUTE_PGM_RSRC2:SCRATCH_EN: 0
; COMPUTE_PGM_RSRC2:USER_SGPR: 2
; COMPUTE_PGM_RSRC2:TRAP_HANDLER: 0
; COMPUTE_PGM_RSRC2:TGID_X_EN: 1
; COMPUTE_PGM_RSRC2:TGID_Y_EN: 0
; COMPUTE_PGM_RSRC2:TGID_Z_EN: 0
; COMPUTE_PGM_RSRC2:TIDIG_COMP_CNT: 0
; COMPUTE_PGM_RSRC3_GFX90A:ACCUM_OFFSET: 0
; COMPUTE_PGM_RSRC3_GFX90A:TG_SPLIT: 0
	.section	.text._ZN7rocprim17ROCPRIM_400000_NS6detail17trampoline_kernelINS0_14default_configENS1_20scan_config_selectorIfEEZZNS1_9scan_implILNS1_25lookback_scan_determinismE0ELb1ELb1ES3_N6thrust23THRUST_200600_302600_NS6detail15normal_iteratorINS9_10device_ptrIKfEEEENSB_INSC_IfEEEEfNS9_4plusIvEEfEEDaPvRmT3_T4_T5_mT6_P12ihipStream_tbENKUlT_T0_E_clISt17integral_constantIbLb0EESW_IbLb1EEEEDaSS_ST_EUlSS_E0_NS1_11comp_targetILNS1_3genE2ELNS1_11target_archE906ELNS1_3gpuE6ELNS1_3repE0EEENS1_30default_config_static_selectorELNS0_4arch9wavefront6targetE1EEEvT1_,"axG",@progbits,_ZN7rocprim17ROCPRIM_400000_NS6detail17trampoline_kernelINS0_14default_configENS1_20scan_config_selectorIfEEZZNS1_9scan_implILNS1_25lookback_scan_determinismE0ELb1ELb1ES3_N6thrust23THRUST_200600_302600_NS6detail15normal_iteratorINS9_10device_ptrIKfEEEENSB_INSC_IfEEEEfNS9_4plusIvEEfEEDaPvRmT3_T4_T5_mT6_P12ihipStream_tbENKUlT_T0_E_clISt17integral_constantIbLb0EESW_IbLb1EEEEDaSS_ST_EUlSS_E0_NS1_11comp_targetILNS1_3genE2ELNS1_11target_archE906ELNS1_3gpuE6ELNS1_3repE0EEENS1_30default_config_static_selectorELNS0_4arch9wavefront6targetE1EEEvT1_,comdat
	.protected	_ZN7rocprim17ROCPRIM_400000_NS6detail17trampoline_kernelINS0_14default_configENS1_20scan_config_selectorIfEEZZNS1_9scan_implILNS1_25lookback_scan_determinismE0ELb1ELb1ES3_N6thrust23THRUST_200600_302600_NS6detail15normal_iteratorINS9_10device_ptrIKfEEEENSB_INSC_IfEEEEfNS9_4plusIvEEfEEDaPvRmT3_T4_T5_mT6_P12ihipStream_tbENKUlT_T0_E_clISt17integral_constantIbLb0EESW_IbLb1EEEEDaSS_ST_EUlSS_E0_NS1_11comp_targetILNS1_3genE2ELNS1_11target_archE906ELNS1_3gpuE6ELNS1_3repE0EEENS1_30default_config_static_selectorELNS0_4arch9wavefront6targetE1EEEvT1_ ; -- Begin function _ZN7rocprim17ROCPRIM_400000_NS6detail17trampoline_kernelINS0_14default_configENS1_20scan_config_selectorIfEEZZNS1_9scan_implILNS1_25lookback_scan_determinismE0ELb1ELb1ES3_N6thrust23THRUST_200600_302600_NS6detail15normal_iteratorINS9_10device_ptrIKfEEEENSB_INSC_IfEEEEfNS9_4plusIvEEfEEDaPvRmT3_T4_T5_mT6_P12ihipStream_tbENKUlT_T0_E_clISt17integral_constantIbLb0EESW_IbLb1EEEEDaSS_ST_EUlSS_E0_NS1_11comp_targetILNS1_3genE2ELNS1_11target_archE906ELNS1_3gpuE6ELNS1_3repE0EEENS1_30default_config_static_selectorELNS0_4arch9wavefront6targetE1EEEvT1_
	.globl	_ZN7rocprim17ROCPRIM_400000_NS6detail17trampoline_kernelINS0_14default_configENS1_20scan_config_selectorIfEEZZNS1_9scan_implILNS1_25lookback_scan_determinismE0ELb1ELb1ES3_N6thrust23THRUST_200600_302600_NS6detail15normal_iteratorINS9_10device_ptrIKfEEEENSB_INSC_IfEEEEfNS9_4plusIvEEfEEDaPvRmT3_T4_T5_mT6_P12ihipStream_tbENKUlT_T0_E_clISt17integral_constantIbLb0EESW_IbLb1EEEEDaSS_ST_EUlSS_E0_NS1_11comp_targetILNS1_3genE2ELNS1_11target_archE906ELNS1_3gpuE6ELNS1_3repE0EEENS1_30default_config_static_selectorELNS0_4arch9wavefront6targetE1EEEvT1_
	.p2align	8
	.type	_ZN7rocprim17ROCPRIM_400000_NS6detail17trampoline_kernelINS0_14default_configENS1_20scan_config_selectorIfEEZZNS1_9scan_implILNS1_25lookback_scan_determinismE0ELb1ELb1ES3_N6thrust23THRUST_200600_302600_NS6detail15normal_iteratorINS9_10device_ptrIKfEEEENSB_INSC_IfEEEEfNS9_4plusIvEEfEEDaPvRmT3_T4_T5_mT6_P12ihipStream_tbENKUlT_T0_E_clISt17integral_constantIbLb0EESW_IbLb1EEEEDaSS_ST_EUlSS_E0_NS1_11comp_targetILNS1_3genE2ELNS1_11target_archE906ELNS1_3gpuE6ELNS1_3repE0EEENS1_30default_config_static_selectorELNS0_4arch9wavefront6targetE1EEEvT1_,@function
_ZN7rocprim17ROCPRIM_400000_NS6detail17trampoline_kernelINS0_14default_configENS1_20scan_config_selectorIfEEZZNS1_9scan_implILNS1_25lookback_scan_determinismE0ELb1ELb1ES3_N6thrust23THRUST_200600_302600_NS6detail15normal_iteratorINS9_10device_ptrIKfEEEENSB_INSC_IfEEEEfNS9_4plusIvEEfEEDaPvRmT3_T4_T5_mT6_P12ihipStream_tbENKUlT_T0_E_clISt17integral_constantIbLb0EESW_IbLb1EEEEDaSS_ST_EUlSS_E0_NS1_11comp_targetILNS1_3genE2ELNS1_11target_archE906ELNS1_3gpuE6ELNS1_3repE0EEENS1_30default_config_static_selectorELNS0_4arch9wavefront6targetE1EEEvT1_: ; @_ZN7rocprim17ROCPRIM_400000_NS6detail17trampoline_kernelINS0_14default_configENS1_20scan_config_selectorIfEEZZNS1_9scan_implILNS1_25lookback_scan_determinismE0ELb1ELb1ES3_N6thrust23THRUST_200600_302600_NS6detail15normal_iteratorINS9_10device_ptrIKfEEEENSB_INSC_IfEEEEfNS9_4plusIvEEfEEDaPvRmT3_T4_T5_mT6_P12ihipStream_tbENKUlT_T0_E_clISt17integral_constantIbLb0EESW_IbLb1EEEEDaSS_ST_EUlSS_E0_NS1_11comp_targetILNS1_3genE2ELNS1_11target_archE906ELNS1_3gpuE6ELNS1_3repE0EEENS1_30default_config_static_selectorELNS0_4arch9wavefront6targetE1EEEvT1_
; %bb.0:
	.section	.rodata,"a",@progbits
	.p2align	6, 0x0
	.amdhsa_kernel _ZN7rocprim17ROCPRIM_400000_NS6detail17trampoline_kernelINS0_14default_configENS1_20scan_config_selectorIfEEZZNS1_9scan_implILNS1_25lookback_scan_determinismE0ELb1ELb1ES3_N6thrust23THRUST_200600_302600_NS6detail15normal_iteratorINS9_10device_ptrIKfEEEENSB_INSC_IfEEEEfNS9_4plusIvEEfEEDaPvRmT3_T4_T5_mT6_P12ihipStream_tbENKUlT_T0_E_clISt17integral_constantIbLb0EESW_IbLb1EEEEDaSS_ST_EUlSS_E0_NS1_11comp_targetILNS1_3genE2ELNS1_11target_archE906ELNS1_3gpuE6ELNS1_3repE0EEENS1_30default_config_static_selectorELNS0_4arch9wavefront6targetE1EEEvT1_
		.amdhsa_group_segment_fixed_size 0
		.amdhsa_private_segment_fixed_size 0
		.amdhsa_kernarg_size 32
		.amdhsa_user_sgpr_count 2
		.amdhsa_user_sgpr_dispatch_ptr 0
		.amdhsa_user_sgpr_queue_ptr 0
		.amdhsa_user_sgpr_kernarg_segment_ptr 1
		.amdhsa_user_sgpr_dispatch_id 0
		.amdhsa_user_sgpr_kernarg_preload_length 0
		.amdhsa_user_sgpr_kernarg_preload_offset 0
		.amdhsa_user_sgpr_private_segment_size 0
		.amdhsa_uses_dynamic_stack 0
		.amdhsa_enable_private_segment 0
		.amdhsa_system_sgpr_workgroup_id_x 1
		.amdhsa_system_sgpr_workgroup_id_y 0
		.amdhsa_system_sgpr_workgroup_id_z 0
		.amdhsa_system_sgpr_workgroup_info 0
		.amdhsa_system_vgpr_workitem_id 0
		.amdhsa_next_free_vgpr 1
		.amdhsa_next_free_sgpr 0
		.amdhsa_accum_offset 4
		.amdhsa_reserve_vcc 0
		.amdhsa_float_round_mode_32 0
		.amdhsa_float_round_mode_16_64 0
		.amdhsa_float_denorm_mode_32 3
		.amdhsa_float_denorm_mode_16_64 3
		.amdhsa_dx10_clamp 1
		.amdhsa_ieee_mode 1
		.amdhsa_fp16_overflow 0
		.amdhsa_tg_split 0
		.amdhsa_exception_fp_ieee_invalid_op 0
		.amdhsa_exception_fp_denorm_src 0
		.amdhsa_exception_fp_ieee_div_zero 0
		.amdhsa_exception_fp_ieee_overflow 0
		.amdhsa_exception_fp_ieee_underflow 0
		.amdhsa_exception_fp_ieee_inexact 0
		.amdhsa_exception_int_div_zero 0
	.end_amdhsa_kernel
	.section	.text._ZN7rocprim17ROCPRIM_400000_NS6detail17trampoline_kernelINS0_14default_configENS1_20scan_config_selectorIfEEZZNS1_9scan_implILNS1_25lookback_scan_determinismE0ELb1ELb1ES3_N6thrust23THRUST_200600_302600_NS6detail15normal_iteratorINS9_10device_ptrIKfEEEENSB_INSC_IfEEEEfNS9_4plusIvEEfEEDaPvRmT3_T4_T5_mT6_P12ihipStream_tbENKUlT_T0_E_clISt17integral_constantIbLb0EESW_IbLb1EEEEDaSS_ST_EUlSS_E0_NS1_11comp_targetILNS1_3genE2ELNS1_11target_archE906ELNS1_3gpuE6ELNS1_3repE0EEENS1_30default_config_static_selectorELNS0_4arch9wavefront6targetE1EEEvT1_,"axG",@progbits,_ZN7rocprim17ROCPRIM_400000_NS6detail17trampoline_kernelINS0_14default_configENS1_20scan_config_selectorIfEEZZNS1_9scan_implILNS1_25lookback_scan_determinismE0ELb1ELb1ES3_N6thrust23THRUST_200600_302600_NS6detail15normal_iteratorINS9_10device_ptrIKfEEEENSB_INSC_IfEEEEfNS9_4plusIvEEfEEDaPvRmT3_T4_T5_mT6_P12ihipStream_tbENKUlT_T0_E_clISt17integral_constantIbLb0EESW_IbLb1EEEEDaSS_ST_EUlSS_E0_NS1_11comp_targetILNS1_3genE2ELNS1_11target_archE906ELNS1_3gpuE6ELNS1_3repE0EEENS1_30default_config_static_selectorELNS0_4arch9wavefront6targetE1EEEvT1_,comdat
.Lfunc_end80:
	.size	_ZN7rocprim17ROCPRIM_400000_NS6detail17trampoline_kernelINS0_14default_configENS1_20scan_config_selectorIfEEZZNS1_9scan_implILNS1_25lookback_scan_determinismE0ELb1ELb1ES3_N6thrust23THRUST_200600_302600_NS6detail15normal_iteratorINS9_10device_ptrIKfEEEENSB_INSC_IfEEEEfNS9_4plusIvEEfEEDaPvRmT3_T4_T5_mT6_P12ihipStream_tbENKUlT_T0_E_clISt17integral_constantIbLb0EESW_IbLb1EEEEDaSS_ST_EUlSS_E0_NS1_11comp_targetILNS1_3genE2ELNS1_11target_archE906ELNS1_3gpuE6ELNS1_3repE0EEENS1_30default_config_static_selectorELNS0_4arch9wavefront6targetE1EEEvT1_, .Lfunc_end80-_ZN7rocprim17ROCPRIM_400000_NS6detail17trampoline_kernelINS0_14default_configENS1_20scan_config_selectorIfEEZZNS1_9scan_implILNS1_25lookback_scan_determinismE0ELb1ELb1ES3_N6thrust23THRUST_200600_302600_NS6detail15normal_iteratorINS9_10device_ptrIKfEEEENSB_INSC_IfEEEEfNS9_4plusIvEEfEEDaPvRmT3_T4_T5_mT6_P12ihipStream_tbENKUlT_T0_E_clISt17integral_constantIbLb0EESW_IbLb1EEEEDaSS_ST_EUlSS_E0_NS1_11comp_targetILNS1_3genE2ELNS1_11target_archE906ELNS1_3gpuE6ELNS1_3repE0EEENS1_30default_config_static_selectorELNS0_4arch9wavefront6targetE1EEEvT1_
                                        ; -- End function
	.section	.AMDGPU.csdata,"",@progbits
; Kernel info:
; codeLenInByte = 0
; NumSgprs: 6
; NumVgprs: 0
; NumAgprs: 0
; TotalNumVgprs: 0
; ScratchSize: 0
; MemoryBound: 0
; FloatMode: 240
; IeeeMode: 1
; LDSByteSize: 0 bytes/workgroup (compile time only)
; SGPRBlocks: 0
; VGPRBlocks: 0
; NumSGPRsForWavesPerEU: 6
; NumVGPRsForWavesPerEU: 1
; AccumOffset: 4
; Occupancy: 8
; WaveLimiterHint : 0
; COMPUTE_PGM_RSRC2:SCRATCH_EN: 0
; COMPUTE_PGM_RSRC2:USER_SGPR: 2
; COMPUTE_PGM_RSRC2:TRAP_HANDLER: 0
; COMPUTE_PGM_RSRC2:TGID_X_EN: 1
; COMPUTE_PGM_RSRC2:TGID_Y_EN: 0
; COMPUTE_PGM_RSRC2:TGID_Z_EN: 0
; COMPUTE_PGM_RSRC2:TIDIG_COMP_CNT: 0
; COMPUTE_PGM_RSRC3_GFX90A:ACCUM_OFFSET: 0
; COMPUTE_PGM_RSRC3_GFX90A:TG_SPLIT: 0
	.section	.text._ZN7rocprim17ROCPRIM_400000_NS6detail17trampoline_kernelINS0_14default_configENS1_20scan_config_selectorIfEEZZNS1_9scan_implILNS1_25lookback_scan_determinismE0ELb1ELb1ES3_N6thrust23THRUST_200600_302600_NS6detail15normal_iteratorINS9_10device_ptrIKfEEEENSB_INSC_IfEEEEfNS9_4plusIvEEfEEDaPvRmT3_T4_T5_mT6_P12ihipStream_tbENKUlT_T0_E_clISt17integral_constantIbLb0EESW_IbLb1EEEEDaSS_ST_EUlSS_E0_NS1_11comp_targetILNS1_3genE10ELNS1_11target_archE1201ELNS1_3gpuE5ELNS1_3repE0EEENS1_30default_config_static_selectorELNS0_4arch9wavefront6targetE1EEEvT1_,"axG",@progbits,_ZN7rocprim17ROCPRIM_400000_NS6detail17trampoline_kernelINS0_14default_configENS1_20scan_config_selectorIfEEZZNS1_9scan_implILNS1_25lookback_scan_determinismE0ELb1ELb1ES3_N6thrust23THRUST_200600_302600_NS6detail15normal_iteratorINS9_10device_ptrIKfEEEENSB_INSC_IfEEEEfNS9_4plusIvEEfEEDaPvRmT3_T4_T5_mT6_P12ihipStream_tbENKUlT_T0_E_clISt17integral_constantIbLb0EESW_IbLb1EEEEDaSS_ST_EUlSS_E0_NS1_11comp_targetILNS1_3genE10ELNS1_11target_archE1201ELNS1_3gpuE5ELNS1_3repE0EEENS1_30default_config_static_selectorELNS0_4arch9wavefront6targetE1EEEvT1_,comdat
	.protected	_ZN7rocprim17ROCPRIM_400000_NS6detail17trampoline_kernelINS0_14default_configENS1_20scan_config_selectorIfEEZZNS1_9scan_implILNS1_25lookback_scan_determinismE0ELb1ELb1ES3_N6thrust23THRUST_200600_302600_NS6detail15normal_iteratorINS9_10device_ptrIKfEEEENSB_INSC_IfEEEEfNS9_4plusIvEEfEEDaPvRmT3_T4_T5_mT6_P12ihipStream_tbENKUlT_T0_E_clISt17integral_constantIbLb0EESW_IbLb1EEEEDaSS_ST_EUlSS_E0_NS1_11comp_targetILNS1_3genE10ELNS1_11target_archE1201ELNS1_3gpuE5ELNS1_3repE0EEENS1_30default_config_static_selectorELNS0_4arch9wavefront6targetE1EEEvT1_ ; -- Begin function _ZN7rocprim17ROCPRIM_400000_NS6detail17trampoline_kernelINS0_14default_configENS1_20scan_config_selectorIfEEZZNS1_9scan_implILNS1_25lookback_scan_determinismE0ELb1ELb1ES3_N6thrust23THRUST_200600_302600_NS6detail15normal_iteratorINS9_10device_ptrIKfEEEENSB_INSC_IfEEEEfNS9_4plusIvEEfEEDaPvRmT3_T4_T5_mT6_P12ihipStream_tbENKUlT_T0_E_clISt17integral_constantIbLb0EESW_IbLb1EEEEDaSS_ST_EUlSS_E0_NS1_11comp_targetILNS1_3genE10ELNS1_11target_archE1201ELNS1_3gpuE5ELNS1_3repE0EEENS1_30default_config_static_selectorELNS0_4arch9wavefront6targetE1EEEvT1_
	.globl	_ZN7rocprim17ROCPRIM_400000_NS6detail17trampoline_kernelINS0_14default_configENS1_20scan_config_selectorIfEEZZNS1_9scan_implILNS1_25lookback_scan_determinismE0ELb1ELb1ES3_N6thrust23THRUST_200600_302600_NS6detail15normal_iteratorINS9_10device_ptrIKfEEEENSB_INSC_IfEEEEfNS9_4plusIvEEfEEDaPvRmT3_T4_T5_mT6_P12ihipStream_tbENKUlT_T0_E_clISt17integral_constantIbLb0EESW_IbLb1EEEEDaSS_ST_EUlSS_E0_NS1_11comp_targetILNS1_3genE10ELNS1_11target_archE1201ELNS1_3gpuE5ELNS1_3repE0EEENS1_30default_config_static_selectorELNS0_4arch9wavefront6targetE1EEEvT1_
	.p2align	8
	.type	_ZN7rocprim17ROCPRIM_400000_NS6detail17trampoline_kernelINS0_14default_configENS1_20scan_config_selectorIfEEZZNS1_9scan_implILNS1_25lookback_scan_determinismE0ELb1ELb1ES3_N6thrust23THRUST_200600_302600_NS6detail15normal_iteratorINS9_10device_ptrIKfEEEENSB_INSC_IfEEEEfNS9_4plusIvEEfEEDaPvRmT3_T4_T5_mT6_P12ihipStream_tbENKUlT_T0_E_clISt17integral_constantIbLb0EESW_IbLb1EEEEDaSS_ST_EUlSS_E0_NS1_11comp_targetILNS1_3genE10ELNS1_11target_archE1201ELNS1_3gpuE5ELNS1_3repE0EEENS1_30default_config_static_selectorELNS0_4arch9wavefront6targetE1EEEvT1_,@function
_ZN7rocprim17ROCPRIM_400000_NS6detail17trampoline_kernelINS0_14default_configENS1_20scan_config_selectorIfEEZZNS1_9scan_implILNS1_25lookback_scan_determinismE0ELb1ELb1ES3_N6thrust23THRUST_200600_302600_NS6detail15normal_iteratorINS9_10device_ptrIKfEEEENSB_INSC_IfEEEEfNS9_4plusIvEEfEEDaPvRmT3_T4_T5_mT6_P12ihipStream_tbENKUlT_T0_E_clISt17integral_constantIbLb0EESW_IbLb1EEEEDaSS_ST_EUlSS_E0_NS1_11comp_targetILNS1_3genE10ELNS1_11target_archE1201ELNS1_3gpuE5ELNS1_3repE0EEENS1_30default_config_static_selectorELNS0_4arch9wavefront6targetE1EEEvT1_: ; @_ZN7rocprim17ROCPRIM_400000_NS6detail17trampoline_kernelINS0_14default_configENS1_20scan_config_selectorIfEEZZNS1_9scan_implILNS1_25lookback_scan_determinismE0ELb1ELb1ES3_N6thrust23THRUST_200600_302600_NS6detail15normal_iteratorINS9_10device_ptrIKfEEEENSB_INSC_IfEEEEfNS9_4plusIvEEfEEDaPvRmT3_T4_T5_mT6_P12ihipStream_tbENKUlT_T0_E_clISt17integral_constantIbLb0EESW_IbLb1EEEEDaSS_ST_EUlSS_E0_NS1_11comp_targetILNS1_3genE10ELNS1_11target_archE1201ELNS1_3gpuE5ELNS1_3repE0EEENS1_30default_config_static_selectorELNS0_4arch9wavefront6targetE1EEEvT1_
; %bb.0:
	.section	.rodata,"a",@progbits
	.p2align	6, 0x0
	.amdhsa_kernel _ZN7rocprim17ROCPRIM_400000_NS6detail17trampoline_kernelINS0_14default_configENS1_20scan_config_selectorIfEEZZNS1_9scan_implILNS1_25lookback_scan_determinismE0ELb1ELb1ES3_N6thrust23THRUST_200600_302600_NS6detail15normal_iteratorINS9_10device_ptrIKfEEEENSB_INSC_IfEEEEfNS9_4plusIvEEfEEDaPvRmT3_T4_T5_mT6_P12ihipStream_tbENKUlT_T0_E_clISt17integral_constantIbLb0EESW_IbLb1EEEEDaSS_ST_EUlSS_E0_NS1_11comp_targetILNS1_3genE10ELNS1_11target_archE1201ELNS1_3gpuE5ELNS1_3repE0EEENS1_30default_config_static_selectorELNS0_4arch9wavefront6targetE1EEEvT1_
		.amdhsa_group_segment_fixed_size 0
		.amdhsa_private_segment_fixed_size 0
		.amdhsa_kernarg_size 32
		.amdhsa_user_sgpr_count 2
		.amdhsa_user_sgpr_dispatch_ptr 0
		.amdhsa_user_sgpr_queue_ptr 0
		.amdhsa_user_sgpr_kernarg_segment_ptr 1
		.amdhsa_user_sgpr_dispatch_id 0
		.amdhsa_user_sgpr_kernarg_preload_length 0
		.amdhsa_user_sgpr_kernarg_preload_offset 0
		.amdhsa_user_sgpr_private_segment_size 0
		.amdhsa_uses_dynamic_stack 0
		.amdhsa_enable_private_segment 0
		.amdhsa_system_sgpr_workgroup_id_x 1
		.amdhsa_system_sgpr_workgroup_id_y 0
		.amdhsa_system_sgpr_workgroup_id_z 0
		.amdhsa_system_sgpr_workgroup_info 0
		.amdhsa_system_vgpr_workitem_id 0
		.amdhsa_next_free_vgpr 1
		.amdhsa_next_free_sgpr 0
		.amdhsa_accum_offset 4
		.amdhsa_reserve_vcc 0
		.amdhsa_float_round_mode_32 0
		.amdhsa_float_round_mode_16_64 0
		.amdhsa_float_denorm_mode_32 3
		.amdhsa_float_denorm_mode_16_64 3
		.amdhsa_dx10_clamp 1
		.amdhsa_ieee_mode 1
		.amdhsa_fp16_overflow 0
		.amdhsa_tg_split 0
		.amdhsa_exception_fp_ieee_invalid_op 0
		.amdhsa_exception_fp_denorm_src 0
		.amdhsa_exception_fp_ieee_div_zero 0
		.amdhsa_exception_fp_ieee_overflow 0
		.amdhsa_exception_fp_ieee_underflow 0
		.amdhsa_exception_fp_ieee_inexact 0
		.amdhsa_exception_int_div_zero 0
	.end_amdhsa_kernel
	.section	.text._ZN7rocprim17ROCPRIM_400000_NS6detail17trampoline_kernelINS0_14default_configENS1_20scan_config_selectorIfEEZZNS1_9scan_implILNS1_25lookback_scan_determinismE0ELb1ELb1ES3_N6thrust23THRUST_200600_302600_NS6detail15normal_iteratorINS9_10device_ptrIKfEEEENSB_INSC_IfEEEEfNS9_4plusIvEEfEEDaPvRmT3_T4_T5_mT6_P12ihipStream_tbENKUlT_T0_E_clISt17integral_constantIbLb0EESW_IbLb1EEEEDaSS_ST_EUlSS_E0_NS1_11comp_targetILNS1_3genE10ELNS1_11target_archE1201ELNS1_3gpuE5ELNS1_3repE0EEENS1_30default_config_static_selectorELNS0_4arch9wavefront6targetE1EEEvT1_,"axG",@progbits,_ZN7rocprim17ROCPRIM_400000_NS6detail17trampoline_kernelINS0_14default_configENS1_20scan_config_selectorIfEEZZNS1_9scan_implILNS1_25lookback_scan_determinismE0ELb1ELb1ES3_N6thrust23THRUST_200600_302600_NS6detail15normal_iteratorINS9_10device_ptrIKfEEEENSB_INSC_IfEEEEfNS9_4plusIvEEfEEDaPvRmT3_T4_T5_mT6_P12ihipStream_tbENKUlT_T0_E_clISt17integral_constantIbLb0EESW_IbLb1EEEEDaSS_ST_EUlSS_E0_NS1_11comp_targetILNS1_3genE10ELNS1_11target_archE1201ELNS1_3gpuE5ELNS1_3repE0EEENS1_30default_config_static_selectorELNS0_4arch9wavefront6targetE1EEEvT1_,comdat
.Lfunc_end81:
	.size	_ZN7rocprim17ROCPRIM_400000_NS6detail17trampoline_kernelINS0_14default_configENS1_20scan_config_selectorIfEEZZNS1_9scan_implILNS1_25lookback_scan_determinismE0ELb1ELb1ES3_N6thrust23THRUST_200600_302600_NS6detail15normal_iteratorINS9_10device_ptrIKfEEEENSB_INSC_IfEEEEfNS9_4plusIvEEfEEDaPvRmT3_T4_T5_mT6_P12ihipStream_tbENKUlT_T0_E_clISt17integral_constantIbLb0EESW_IbLb1EEEEDaSS_ST_EUlSS_E0_NS1_11comp_targetILNS1_3genE10ELNS1_11target_archE1201ELNS1_3gpuE5ELNS1_3repE0EEENS1_30default_config_static_selectorELNS0_4arch9wavefront6targetE1EEEvT1_, .Lfunc_end81-_ZN7rocprim17ROCPRIM_400000_NS6detail17trampoline_kernelINS0_14default_configENS1_20scan_config_selectorIfEEZZNS1_9scan_implILNS1_25lookback_scan_determinismE0ELb1ELb1ES3_N6thrust23THRUST_200600_302600_NS6detail15normal_iteratorINS9_10device_ptrIKfEEEENSB_INSC_IfEEEEfNS9_4plusIvEEfEEDaPvRmT3_T4_T5_mT6_P12ihipStream_tbENKUlT_T0_E_clISt17integral_constantIbLb0EESW_IbLb1EEEEDaSS_ST_EUlSS_E0_NS1_11comp_targetILNS1_3genE10ELNS1_11target_archE1201ELNS1_3gpuE5ELNS1_3repE0EEENS1_30default_config_static_selectorELNS0_4arch9wavefront6targetE1EEEvT1_
                                        ; -- End function
	.section	.AMDGPU.csdata,"",@progbits
; Kernel info:
; codeLenInByte = 0
; NumSgprs: 6
; NumVgprs: 0
; NumAgprs: 0
; TotalNumVgprs: 0
; ScratchSize: 0
; MemoryBound: 0
; FloatMode: 240
; IeeeMode: 1
; LDSByteSize: 0 bytes/workgroup (compile time only)
; SGPRBlocks: 0
; VGPRBlocks: 0
; NumSGPRsForWavesPerEU: 6
; NumVGPRsForWavesPerEU: 1
; AccumOffset: 4
; Occupancy: 8
; WaveLimiterHint : 0
; COMPUTE_PGM_RSRC2:SCRATCH_EN: 0
; COMPUTE_PGM_RSRC2:USER_SGPR: 2
; COMPUTE_PGM_RSRC2:TRAP_HANDLER: 0
; COMPUTE_PGM_RSRC2:TGID_X_EN: 1
; COMPUTE_PGM_RSRC2:TGID_Y_EN: 0
; COMPUTE_PGM_RSRC2:TGID_Z_EN: 0
; COMPUTE_PGM_RSRC2:TIDIG_COMP_CNT: 0
; COMPUTE_PGM_RSRC3_GFX90A:ACCUM_OFFSET: 0
; COMPUTE_PGM_RSRC3_GFX90A:TG_SPLIT: 0
	.section	.text._ZN7rocprim17ROCPRIM_400000_NS6detail17trampoline_kernelINS0_14default_configENS1_20scan_config_selectorIfEEZZNS1_9scan_implILNS1_25lookback_scan_determinismE0ELb1ELb1ES3_N6thrust23THRUST_200600_302600_NS6detail15normal_iteratorINS9_10device_ptrIKfEEEENSB_INSC_IfEEEEfNS9_4plusIvEEfEEDaPvRmT3_T4_T5_mT6_P12ihipStream_tbENKUlT_T0_E_clISt17integral_constantIbLb0EESW_IbLb1EEEEDaSS_ST_EUlSS_E0_NS1_11comp_targetILNS1_3genE10ELNS1_11target_archE1200ELNS1_3gpuE4ELNS1_3repE0EEENS1_30default_config_static_selectorELNS0_4arch9wavefront6targetE1EEEvT1_,"axG",@progbits,_ZN7rocprim17ROCPRIM_400000_NS6detail17trampoline_kernelINS0_14default_configENS1_20scan_config_selectorIfEEZZNS1_9scan_implILNS1_25lookback_scan_determinismE0ELb1ELb1ES3_N6thrust23THRUST_200600_302600_NS6detail15normal_iteratorINS9_10device_ptrIKfEEEENSB_INSC_IfEEEEfNS9_4plusIvEEfEEDaPvRmT3_T4_T5_mT6_P12ihipStream_tbENKUlT_T0_E_clISt17integral_constantIbLb0EESW_IbLb1EEEEDaSS_ST_EUlSS_E0_NS1_11comp_targetILNS1_3genE10ELNS1_11target_archE1200ELNS1_3gpuE4ELNS1_3repE0EEENS1_30default_config_static_selectorELNS0_4arch9wavefront6targetE1EEEvT1_,comdat
	.protected	_ZN7rocprim17ROCPRIM_400000_NS6detail17trampoline_kernelINS0_14default_configENS1_20scan_config_selectorIfEEZZNS1_9scan_implILNS1_25lookback_scan_determinismE0ELb1ELb1ES3_N6thrust23THRUST_200600_302600_NS6detail15normal_iteratorINS9_10device_ptrIKfEEEENSB_INSC_IfEEEEfNS9_4plusIvEEfEEDaPvRmT3_T4_T5_mT6_P12ihipStream_tbENKUlT_T0_E_clISt17integral_constantIbLb0EESW_IbLb1EEEEDaSS_ST_EUlSS_E0_NS1_11comp_targetILNS1_3genE10ELNS1_11target_archE1200ELNS1_3gpuE4ELNS1_3repE0EEENS1_30default_config_static_selectorELNS0_4arch9wavefront6targetE1EEEvT1_ ; -- Begin function _ZN7rocprim17ROCPRIM_400000_NS6detail17trampoline_kernelINS0_14default_configENS1_20scan_config_selectorIfEEZZNS1_9scan_implILNS1_25lookback_scan_determinismE0ELb1ELb1ES3_N6thrust23THRUST_200600_302600_NS6detail15normal_iteratorINS9_10device_ptrIKfEEEENSB_INSC_IfEEEEfNS9_4plusIvEEfEEDaPvRmT3_T4_T5_mT6_P12ihipStream_tbENKUlT_T0_E_clISt17integral_constantIbLb0EESW_IbLb1EEEEDaSS_ST_EUlSS_E0_NS1_11comp_targetILNS1_3genE10ELNS1_11target_archE1200ELNS1_3gpuE4ELNS1_3repE0EEENS1_30default_config_static_selectorELNS0_4arch9wavefront6targetE1EEEvT1_
	.globl	_ZN7rocprim17ROCPRIM_400000_NS6detail17trampoline_kernelINS0_14default_configENS1_20scan_config_selectorIfEEZZNS1_9scan_implILNS1_25lookback_scan_determinismE0ELb1ELb1ES3_N6thrust23THRUST_200600_302600_NS6detail15normal_iteratorINS9_10device_ptrIKfEEEENSB_INSC_IfEEEEfNS9_4plusIvEEfEEDaPvRmT3_T4_T5_mT6_P12ihipStream_tbENKUlT_T0_E_clISt17integral_constantIbLb0EESW_IbLb1EEEEDaSS_ST_EUlSS_E0_NS1_11comp_targetILNS1_3genE10ELNS1_11target_archE1200ELNS1_3gpuE4ELNS1_3repE0EEENS1_30default_config_static_selectorELNS0_4arch9wavefront6targetE1EEEvT1_
	.p2align	8
	.type	_ZN7rocprim17ROCPRIM_400000_NS6detail17trampoline_kernelINS0_14default_configENS1_20scan_config_selectorIfEEZZNS1_9scan_implILNS1_25lookback_scan_determinismE0ELb1ELb1ES3_N6thrust23THRUST_200600_302600_NS6detail15normal_iteratorINS9_10device_ptrIKfEEEENSB_INSC_IfEEEEfNS9_4plusIvEEfEEDaPvRmT3_T4_T5_mT6_P12ihipStream_tbENKUlT_T0_E_clISt17integral_constantIbLb0EESW_IbLb1EEEEDaSS_ST_EUlSS_E0_NS1_11comp_targetILNS1_3genE10ELNS1_11target_archE1200ELNS1_3gpuE4ELNS1_3repE0EEENS1_30default_config_static_selectorELNS0_4arch9wavefront6targetE1EEEvT1_,@function
_ZN7rocprim17ROCPRIM_400000_NS6detail17trampoline_kernelINS0_14default_configENS1_20scan_config_selectorIfEEZZNS1_9scan_implILNS1_25lookback_scan_determinismE0ELb1ELb1ES3_N6thrust23THRUST_200600_302600_NS6detail15normal_iteratorINS9_10device_ptrIKfEEEENSB_INSC_IfEEEEfNS9_4plusIvEEfEEDaPvRmT3_T4_T5_mT6_P12ihipStream_tbENKUlT_T0_E_clISt17integral_constantIbLb0EESW_IbLb1EEEEDaSS_ST_EUlSS_E0_NS1_11comp_targetILNS1_3genE10ELNS1_11target_archE1200ELNS1_3gpuE4ELNS1_3repE0EEENS1_30default_config_static_selectorELNS0_4arch9wavefront6targetE1EEEvT1_: ; @_ZN7rocprim17ROCPRIM_400000_NS6detail17trampoline_kernelINS0_14default_configENS1_20scan_config_selectorIfEEZZNS1_9scan_implILNS1_25lookback_scan_determinismE0ELb1ELb1ES3_N6thrust23THRUST_200600_302600_NS6detail15normal_iteratorINS9_10device_ptrIKfEEEENSB_INSC_IfEEEEfNS9_4plusIvEEfEEDaPvRmT3_T4_T5_mT6_P12ihipStream_tbENKUlT_T0_E_clISt17integral_constantIbLb0EESW_IbLb1EEEEDaSS_ST_EUlSS_E0_NS1_11comp_targetILNS1_3genE10ELNS1_11target_archE1200ELNS1_3gpuE4ELNS1_3repE0EEENS1_30default_config_static_selectorELNS0_4arch9wavefront6targetE1EEEvT1_
; %bb.0:
	.section	.rodata,"a",@progbits
	.p2align	6, 0x0
	.amdhsa_kernel _ZN7rocprim17ROCPRIM_400000_NS6detail17trampoline_kernelINS0_14default_configENS1_20scan_config_selectorIfEEZZNS1_9scan_implILNS1_25lookback_scan_determinismE0ELb1ELb1ES3_N6thrust23THRUST_200600_302600_NS6detail15normal_iteratorINS9_10device_ptrIKfEEEENSB_INSC_IfEEEEfNS9_4plusIvEEfEEDaPvRmT3_T4_T5_mT6_P12ihipStream_tbENKUlT_T0_E_clISt17integral_constantIbLb0EESW_IbLb1EEEEDaSS_ST_EUlSS_E0_NS1_11comp_targetILNS1_3genE10ELNS1_11target_archE1200ELNS1_3gpuE4ELNS1_3repE0EEENS1_30default_config_static_selectorELNS0_4arch9wavefront6targetE1EEEvT1_
		.amdhsa_group_segment_fixed_size 0
		.amdhsa_private_segment_fixed_size 0
		.amdhsa_kernarg_size 32
		.amdhsa_user_sgpr_count 2
		.amdhsa_user_sgpr_dispatch_ptr 0
		.amdhsa_user_sgpr_queue_ptr 0
		.amdhsa_user_sgpr_kernarg_segment_ptr 1
		.amdhsa_user_sgpr_dispatch_id 0
		.amdhsa_user_sgpr_kernarg_preload_length 0
		.amdhsa_user_sgpr_kernarg_preload_offset 0
		.amdhsa_user_sgpr_private_segment_size 0
		.amdhsa_uses_dynamic_stack 0
		.amdhsa_enable_private_segment 0
		.amdhsa_system_sgpr_workgroup_id_x 1
		.amdhsa_system_sgpr_workgroup_id_y 0
		.amdhsa_system_sgpr_workgroup_id_z 0
		.amdhsa_system_sgpr_workgroup_info 0
		.amdhsa_system_vgpr_workitem_id 0
		.amdhsa_next_free_vgpr 1
		.amdhsa_next_free_sgpr 0
		.amdhsa_accum_offset 4
		.amdhsa_reserve_vcc 0
		.amdhsa_float_round_mode_32 0
		.amdhsa_float_round_mode_16_64 0
		.amdhsa_float_denorm_mode_32 3
		.amdhsa_float_denorm_mode_16_64 3
		.amdhsa_dx10_clamp 1
		.amdhsa_ieee_mode 1
		.amdhsa_fp16_overflow 0
		.amdhsa_tg_split 0
		.amdhsa_exception_fp_ieee_invalid_op 0
		.amdhsa_exception_fp_denorm_src 0
		.amdhsa_exception_fp_ieee_div_zero 0
		.amdhsa_exception_fp_ieee_overflow 0
		.amdhsa_exception_fp_ieee_underflow 0
		.amdhsa_exception_fp_ieee_inexact 0
		.amdhsa_exception_int_div_zero 0
	.end_amdhsa_kernel
	.section	.text._ZN7rocprim17ROCPRIM_400000_NS6detail17trampoline_kernelINS0_14default_configENS1_20scan_config_selectorIfEEZZNS1_9scan_implILNS1_25lookback_scan_determinismE0ELb1ELb1ES3_N6thrust23THRUST_200600_302600_NS6detail15normal_iteratorINS9_10device_ptrIKfEEEENSB_INSC_IfEEEEfNS9_4plusIvEEfEEDaPvRmT3_T4_T5_mT6_P12ihipStream_tbENKUlT_T0_E_clISt17integral_constantIbLb0EESW_IbLb1EEEEDaSS_ST_EUlSS_E0_NS1_11comp_targetILNS1_3genE10ELNS1_11target_archE1200ELNS1_3gpuE4ELNS1_3repE0EEENS1_30default_config_static_selectorELNS0_4arch9wavefront6targetE1EEEvT1_,"axG",@progbits,_ZN7rocprim17ROCPRIM_400000_NS6detail17trampoline_kernelINS0_14default_configENS1_20scan_config_selectorIfEEZZNS1_9scan_implILNS1_25lookback_scan_determinismE0ELb1ELb1ES3_N6thrust23THRUST_200600_302600_NS6detail15normal_iteratorINS9_10device_ptrIKfEEEENSB_INSC_IfEEEEfNS9_4plusIvEEfEEDaPvRmT3_T4_T5_mT6_P12ihipStream_tbENKUlT_T0_E_clISt17integral_constantIbLb0EESW_IbLb1EEEEDaSS_ST_EUlSS_E0_NS1_11comp_targetILNS1_3genE10ELNS1_11target_archE1200ELNS1_3gpuE4ELNS1_3repE0EEENS1_30default_config_static_selectorELNS0_4arch9wavefront6targetE1EEEvT1_,comdat
.Lfunc_end82:
	.size	_ZN7rocprim17ROCPRIM_400000_NS6detail17trampoline_kernelINS0_14default_configENS1_20scan_config_selectorIfEEZZNS1_9scan_implILNS1_25lookback_scan_determinismE0ELb1ELb1ES3_N6thrust23THRUST_200600_302600_NS6detail15normal_iteratorINS9_10device_ptrIKfEEEENSB_INSC_IfEEEEfNS9_4plusIvEEfEEDaPvRmT3_T4_T5_mT6_P12ihipStream_tbENKUlT_T0_E_clISt17integral_constantIbLb0EESW_IbLb1EEEEDaSS_ST_EUlSS_E0_NS1_11comp_targetILNS1_3genE10ELNS1_11target_archE1200ELNS1_3gpuE4ELNS1_3repE0EEENS1_30default_config_static_selectorELNS0_4arch9wavefront6targetE1EEEvT1_, .Lfunc_end82-_ZN7rocprim17ROCPRIM_400000_NS6detail17trampoline_kernelINS0_14default_configENS1_20scan_config_selectorIfEEZZNS1_9scan_implILNS1_25lookback_scan_determinismE0ELb1ELb1ES3_N6thrust23THRUST_200600_302600_NS6detail15normal_iteratorINS9_10device_ptrIKfEEEENSB_INSC_IfEEEEfNS9_4plusIvEEfEEDaPvRmT3_T4_T5_mT6_P12ihipStream_tbENKUlT_T0_E_clISt17integral_constantIbLb0EESW_IbLb1EEEEDaSS_ST_EUlSS_E0_NS1_11comp_targetILNS1_3genE10ELNS1_11target_archE1200ELNS1_3gpuE4ELNS1_3repE0EEENS1_30default_config_static_selectorELNS0_4arch9wavefront6targetE1EEEvT1_
                                        ; -- End function
	.section	.AMDGPU.csdata,"",@progbits
; Kernel info:
; codeLenInByte = 0
; NumSgprs: 6
; NumVgprs: 0
; NumAgprs: 0
; TotalNumVgprs: 0
; ScratchSize: 0
; MemoryBound: 0
; FloatMode: 240
; IeeeMode: 1
; LDSByteSize: 0 bytes/workgroup (compile time only)
; SGPRBlocks: 0
; VGPRBlocks: 0
; NumSGPRsForWavesPerEU: 6
; NumVGPRsForWavesPerEU: 1
; AccumOffset: 4
; Occupancy: 8
; WaveLimiterHint : 0
; COMPUTE_PGM_RSRC2:SCRATCH_EN: 0
; COMPUTE_PGM_RSRC2:USER_SGPR: 2
; COMPUTE_PGM_RSRC2:TRAP_HANDLER: 0
; COMPUTE_PGM_RSRC2:TGID_X_EN: 1
; COMPUTE_PGM_RSRC2:TGID_Y_EN: 0
; COMPUTE_PGM_RSRC2:TGID_Z_EN: 0
; COMPUTE_PGM_RSRC2:TIDIG_COMP_CNT: 0
; COMPUTE_PGM_RSRC3_GFX90A:ACCUM_OFFSET: 0
; COMPUTE_PGM_RSRC3_GFX90A:TG_SPLIT: 0
	.section	.text._ZN7rocprim17ROCPRIM_400000_NS6detail17trampoline_kernelINS0_14default_configENS1_20scan_config_selectorIfEEZZNS1_9scan_implILNS1_25lookback_scan_determinismE0ELb1ELb1ES3_N6thrust23THRUST_200600_302600_NS6detail15normal_iteratorINS9_10device_ptrIKfEEEENSB_INSC_IfEEEEfNS9_4plusIvEEfEEDaPvRmT3_T4_T5_mT6_P12ihipStream_tbENKUlT_T0_E_clISt17integral_constantIbLb0EESW_IbLb1EEEEDaSS_ST_EUlSS_E0_NS1_11comp_targetILNS1_3genE9ELNS1_11target_archE1100ELNS1_3gpuE3ELNS1_3repE0EEENS1_30default_config_static_selectorELNS0_4arch9wavefront6targetE1EEEvT1_,"axG",@progbits,_ZN7rocprim17ROCPRIM_400000_NS6detail17trampoline_kernelINS0_14default_configENS1_20scan_config_selectorIfEEZZNS1_9scan_implILNS1_25lookback_scan_determinismE0ELb1ELb1ES3_N6thrust23THRUST_200600_302600_NS6detail15normal_iteratorINS9_10device_ptrIKfEEEENSB_INSC_IfEEEEfNS9_4plusIvEEfEEDaPvRmT3_T4_T5_mT6_P12ihipStream_tbENKUlT_T0_E_clISt17integral_constantIbLb0EESW_IbLb1EEEEDaSS_ST_EUlSS_E0_NS1_11comp_targetILNS1_3genE9ELNS1_11target_archE1100ELNS1_3gpuE3ELNS1_3repE0EEENS1_30default_config_static_selectorELNS0_4arch9wavefront6targetE1EEEvT1_,comdat
	.protected	_ZN7rocprim17ROCPRIM_400000_NS6detail17trampoline_kernelINS0_14default_configENS1_20scan_config_selectorIfEEZZNS1_9scan_implILNS1_25lookback_scan_determinismE0ELb1ELb1ES3_N6thrust23THRUST_200600_302600_NS6detail15normal_iteratorINS9_10device_ptrIKfEEEENSB_INSC_IfEEEEfNS9_4plusIvEEfEEDaPvRmT3_T4_T5_mT6_P12ihipStream_tbENKUlT_T0_E_clISt17integral_constantIbLb0EESW_IbLb1EEEEDaSS_ST_EUlSS_E0_NS1_11comp_targetILNS1_3genE9ELNS1_11target_archE1100ELNS1_3gpuE3ELNS1_3repE0EEENS1_30default_config_static_selectorELNS0_4arch9wavefront6targetE1EEEvT1_ ; -- Begin function _ZN7rocprim17ROCPRIM_400000_NS6detail17trampoline_kernelINS0_14default_configENS1_20scan_config_selectorIfEEZZNS1_9scan_implILNS1_25lookback_scan_determinismE0ELb1ELb1ES3_N6thrust23THRUST_200600_302600_NS6detail15normal_iteratorINS9_10device_ptrIKfEEEENSB_INSC_IfEEEEfNS9_4plusIvEEfEEDaPvRmT3_T4_T5_mT6_P12ihipStream_tbENKUlT_T0_E_clISt17integral_constantIbLb0EESW_IbLb1EEEEDaSS_ST_EUlSS_E0_NS1_11comp_targetILNS1_3genE9ELNS1_11target_archE1100ELNS1_3gpuE3ELNS1_3repE0EEENS1_30default_config_static_selectorELNS0_4arch9wavefront6targetE1EEEvT1_
	.globl	_ZN7rocprim17ROCPRIM_400000_NS6detail17trampoline_kernelINS0_14default_configENS1_20scan_config_selectorIfEEZZNS1_9scan_implILNS1_25lookback_scan_determinismE0ELb1ELb1ES3_N6thrust23THRUST_200600_302600_NS6detail15normal_iteratorINS9_10device_ptrIKfEEEENSB_INSC_IfEEEEfNS9_4plusIvEEfEEDaPvRmT3_T4_T5_mT6_P12ihipStream_tbENKUlT_T0_E_clISt17integral_constantIbLb0EESW_IbLb1EEEEDaSS_ST_EUlSS_E0_NS1_11comp_targetILNS1_3genE9ELNS1_11target_archE1100ELNS1_3gpuE3ELNS1_3repE0EEENS1_30default_config_static_selectorELNS0_4arch9wavefront6targetE1EEEvT1_
	.p2align	8
	.type	_ZN7rocprim17ROCPRIM_400000_NS6detail17trampoline_kernelINS0_14default_configENS1_20scan_config_selectorIfEEZZNS1_9scan_implILNS1_25lookback_scan_determinismE0ELb1ELb1ES3_N6thrust23THRUST_200600_302600_NS6detail15normal_iteratorINS9_10device_ptrIKfEEEENSB_INSC_IfEEEEfNS9_4plusIvEEfEEDaPvRmT3_T4_T5_mT6_P12ihipStream_tbENKUlT_T0_E_clISt17integral_constantIbLb0EESW_IbLb1EEEEDaSS_ST_EUlSS_E0_NS1_11comp_targetILNS1_3genE9ELNS1_11target_archE1100ELNS1_3gpuE3ELNS1_3repE0EEENS1_30default_config_static_selectorELNS0_4arch9wavefront6targetE1EEEvT1_,@function
_ZN7rocprim17ROCPRIM_400000_NS6detail17trampoline_kernelINS0_14default_configENS1_20scan_config_selectorIfEEZZNS1_9scan_implILNS1_25lookback_scan_determinismE0ELb1ELb1ES3_N6thrust23THRUST_200600_302600_NS6detail15normal_iteratorINS9_10device_ptrIKfEEEENSB_INSC_IfEEEEfNS9_4plusIvEEfEEDaPvRmT3_T4_T5_mT6_P12ihipStream_tbENKUlT_T0_E_clISt17integral_constantIbLb0EESW_IbLb1EEEEDaSS_ST_EUlSS_E0_NS1_11comp_targetILNS1_3genE9ELNS1_11target_archE1100ELNS1_3gpuE3ELNS1_3repE0EEENS1_30default_config_static_selectorELNS0_4arch9wavefront6targetE1EEEvT1_: ; @_ZN7rocprim17ROCPRIM_400000_NS6detail17trampoline_kernelINS0_14default_configENS1_20scan_config_selectorIfEEZZNS1_9scan_implILNS1_25lookback_scan_determinismE0ELb1ELb1ES3_N6thrust23THRUST_200600_302600_NS6detail15normal_iteratorINS9_10device_ptrIKfEEEENSB_INSC_IfEEEEfNS9_4plusIvEEfEEDaPvRmT3_T4_T5_mT6_P12ihipStream_tbENKUlT_T0_E_clISt17integral_constantIbLb0EESW_IbLb1EEEEDaSS_ST_EUlSS_E0_NS1_11comp_targetILNS1_3genE9ELNS1_11target_archE1100ELNS1_3gpuE3ELNS1_3repE0EEENS1_30default_config_static_selectorELNS0_4arch9wavefront6targetE1EEEvT1_
; %bb.0:
	.section	.rodata,"a",@progbits
	.p2align	6, 0x0
	.amdhsa_kernel _ZN7rocprim17ROCPRIM_400000_NS6detail17trampoline_kernelINS0_14default_configENS1_20scan_config_selectorIfEEZZNS1_9scan_implILNS1_25lookback_scan_determinismE0ELb1ELb1ES3_N6thrust23THRUST_200600_302600_NS6detail15normal_iteratorINS9_10device_ptrIKfEEEENSB_INSC_IfEEEEfNS9_4plusIvEEfEEDaPvRmT3_T4_T5_mT6_P12ihipStream_tbENKUlT_T0_E_clISt17integral_constantIbLb0EESW_IbLb1EEEEDaSS_ST_EUlSS_E0_NS1_11comp_targetILNS1_3genE9ELNS1_11target_archE1100ELNS1_3gpuE3ELNS1_3repE0EEENS1_30default_config_static_selectorELNS0_4arch9wavefront6targetE1EEEvT1_
		.amdhsa_group_segment_fixed_size 0
		.amdhsa_private_segment_fixed_size 0
		.amdhsa_kernarg_size 32
		.amdhsa_user_sgpr_count 2
		.amdhsa_user_sgpr_dispatch_ptr 0
		.amdhsa_user_sgpr_queue_ptr 0
		.amdhsa_user_sgpr_kernarg_segment_ptr 1
		.amdhsa_user_sgpr_dispatch_id 0
		.amdhsa_user_sgpr_kernarg_preload_length 0
		.amdhsa_user_sgpr_kernarg_preload_offset 0
		.amdhsa_user_sgpr_private_segment_size 0
		.amdhsa_uses_dynamic_stack 0
		.amdhsa_enable_private_segment 0
		.amdhsa_system_sgpr_workgroup_id_x 1
		.amdhsa_system_sgpr_workgroup_id_y 0
		.amdhsa_system_sgpr_workgroup_id_z 0
		.amdhsa_system_sgpr_workgroup_info 0
		.amdhsa_system_vgpr_workitem_id 0
		.amdhsa_next_free_vgpr 1
		.amdhsa_next_free_sgpr 0
		.amdhsa_accum_offset 4
		.amdhsa_reserve_vcc 0
		.amdhsa_float_round_mode_32 0
		.amdhsa_float_round_mode_16_64 0
		.amdhsa_float_denorm_mode_32 3
		.amdhsa_float_denorm_mode_16_64 3
		.amdhsa_dx10_clamp 1
		.amdhsa_ieee_mode 1
		.amdhsa_fp16_overflow 0
		.amdhsa_tg_split 0
		.amdhsa_exception_fp_ieee_invalid_op 0
		.amdhsa_exception_fp_denorm_src 0
		.amdhsa_exception_fp_ieee_div_zero 0
		.amdhsa_exception_fp_ieee_overflow 0
		.amdhsa_exception_fp_ieee_underflow 0
		.amdhsa_exception_fp_ieee_inexact 0
		.amdhsa_exception_int_div_zero 0
	.end_amdhsa_kernel
	.section	.text._ZN7rocprim17ROCPRIM_400000_NS6detail17trampoline_kernelINS0_14default_configENS1_20scan_config_selectorIfEEZZNS1_9scan_implILNS1_25lookback_scan_determinismE0ELb1ELb1ES3_N6thrust23THRUST_200600_302600_NS6detail15normal_iteratorINS9_10device_ptrIKfEEEENSB_INSC_IfEEEEfNS9_4plusIvEEfEEDaPvRmT3_T4_T5_mT6_P12ihipStream_tbENKUlT_T0_E_clISt17integral_constantIbLb0EESW_IbLb1EEEEDaSS_ST_EUlSS_E0_NS1_11comp_targetILNS1_3genE9ELNS1_11target_archE1100ELNS1_3gpuE3ELNS1_3repE0EEENS1_30default_config_static_selectorELNS0_4arch9wavefront6targetE1EEEvT1_,"axG",@progbits,_ZN7rocprim17ROCPRIM_400000_NS6detail17trampoline_kernelINS0_14default_configENS1_20scan_config_selectorIfEEZZNS1_9scan_implILNS1_25lookback_scan_determinismE0ELb1ELb1ES3_N6thrust23THRUST_200600_302600_NS6detail15normal_iteratorINS9_10device_ptrIKfEEEENSB_INSC_IfEEEEfNS9_4plusIvEEfEEDaPvRmT3_T4_T5_mT6_P12ihipStream_tbENKUlT_T0_E_clISt17integral_constantIbLb0EESW_IbLb1EEEEDaSS_ST_EUlSS_E0_NS1_11comp_targetILNS1_3genE9ELNS1_11target_archE1100ELNS1_3gpuE3ELNS1_3repE0EEENS1_30default_config_static_selectorELNS0_4arch9wavefront6targetE1EEEvT1_,comdat
.Lfunc_end83:
	.size	_ZN7rocprim17ROCPRIM_400000_NS6detail17trampoline_kernelINS0_14default_configENS1_20scan_config_selectorIfEEZZNS1_9scan_implILNS1_25lookback_scan_determinismE0ELb1ELb1ES3_N6thrust23THRUST_200600_302600_NS6detail15normal_iteratorINS9_10device_ptrIKfEEEENSB_INSC_IfEEEEfNS9_4plusIvEEfEEDaPvRmT3_T4_T5_mT6_P12ihipStream_tbENKUlT_T0_E_clISt17integral_constantIbLb0EESW_IbLb1EEEEDaSS_ST_EUlSS_E0_NS1_11comp_targetILNS1_3genE9ELNS1_11target_archE1100ELNS1_3gpuE3ELNS1_3repE0EEENS1_30default_config_static_selectorELNS0_4arch9wavefront6targetE1EEEvT1_, .Lfunc_end83-_ZN7rocprim17ROCPRIM_400000_NS6detail17trampoline_kernelINS0_14default_configENS1_20scan_config_selectorIfEEZZNS1_9scan_implILNS1_25lookback_scan_determinismE0ELb1ELb1ES3_N6thrust23THRUST_200600_302600_NS6detail15normal_iteratorINS9_10device_ptrIKfEEEENSB_INSC_IfEEEEfNS9_4plusIvEEfEEDaPvRmT3_T4_T5_mT6_P12ihipStream_tbENKUlT_T0_E_clISt17integral_constantIbLb0EESW_IbLb1EEEEDaSS_ST_EUlSS_E0_NS1_11comp_targetILNS1_3genE9ELNS1_11target_archE1100ELNS1_3gpuE3ELNS1_3repE0EEENS1_30default_config_static_selectorELNS0_4arch9wavefront6targetE1EEEvT1_
                                        ; -- End function
	.section	.AMDGPU.csdata,"",@progbits
; Kernel info:
; codeLenInByte = 0
; NumSgprs: 6
; NumVgprs: 0
; NumAgprs: 0
; TotalNumVgprs: 0
; ScratchSize: 0
; MemoryBound: 0
; FloatMode: 240
; IeeeMode: 1
; LDSByteSize: 0 bytes/workgroup (compile time only)
; SGPRBlocks: 0
; VGPRBlocks: 0
; NumSGPRsForWavesPerEU: 6
; NumVGPRsForWavesPerEU: 1
; AccumOffset: 4
; Occupancy: 8
; WaveLimiterHint : 0
; COMPUTE_PGM_RSRC2:SCRATCH_EN: 0
; COMPUTE_PGM_RSRC2:USER_SGPR: 2
; COMPUTE_PGM_RSRC2:TRAP_HANDLER: 0
; COMPUTE_PGM_RSRC2:TGID_X_EN: 1
; COMPUTE_PGM_RSRC2:TGID_Y_EN: 0
; COMPUTE_PGM_RSRC2:TGID_Z_EN: 0
; COMPUTE_PGM_RSRC2:TIDIG_COMP_CNT: 0
; COMPUTE_PGM_RSRC3_GFX90A:ACCUM_OFFSET: 0
; COMPUTE_PGM_RSRC3_GFX90A:TG_SPLIT: 0
	.section	.text._ZN7rocprim17ROCPRIM_400000_NS6detail17trampoline_kernelINS0_14default_configENS1_20scan_config_selectorIfEEZZNS1_9scan_implILNS1_25lookback_scan_determinismE0ELb1ELb1ES3_N6thrust23THRUST_200600_302600_NS6detail15normal_iteratorINS9_10device_ptrIKfEEEENSB_INSC_IfEEEEfNS9_4plusIvEEfEEDaPvRmT3_T4_T5_mT6_P12ihipStream_tbENKUlT_T0_E_clISt17integral_constantIbLb0EESW_IbLb1EEEEDaSS_ST_EUlSS_E0_NS1_11comp_targetILNS1_3genE8ELNS1_11target_archE1030ELNS1_3gpuE2ELNS1_3repE0EEENS1_30default_config_static_selectorELNS0_4arch9wavefront6targetE1EEEvT1_,"axG",@progbits,_ZN7rocprim17ROCPRIM_400000_NS6detail17trampoline_kernelINS0_14default_configENS1_20scan_config_selectorIfEEZZNS1_9scan_implILNS1_25lookback_scan_determinismE0ELb1ELb1ES3_N6thrust23THRUST_200600_302600_NS6detail15normal_iteratorINS9_10device_ptrIKfEEEENSB_INSC_IfEEEEfNS9_4plusIvEEfEEDaPvRmT3_T4_T5_mT6_P12ihipStream_tbENKUlT_T0_E_clISt17integral_constantIbLb0EESW_IbLb1EEEEDaSS_ST_EUlSS_E0_NS1_11comp_targetILNS1_3genE8ELNS1_11target_archE1030ELNS1_3gpuE2ELNS1_3repE0EEENS1_30default_config_static_selectorELNS0_4arch9wavefront6targetE1EEEvT1_,comdat
	.protected	_ZN7rocprim17ROCPRIM_400000_NS6detail17trampoline_kernelINS0_14default_configENS1_20scan_config_selectorIfEEZZNS1_9scan_implILNS1_25lookback_scan_determinismE0ELb1ELb1ES3_N6thrust23THRUST_200600_302600_NS6detail15normal_iteratorINS9_10device_ptrIKfEEEENSB_INSC_IfEEEEfNS9_4plusIvEEfEEDaPvRmT3_T4_T5_mT6_P12ihipStream_tbENKUlT_T0_E_clISt17integral_constantIbLb0EESW_IbLb1EEEEDaSS_ST_EUlSS_E0_NS1_11comp_targetILNS1_3genE8ELNS1_11target_archE1030ELNS1_3gpuE2ELNS1_3repE0EEENS1_30default_config_static_selectorELNS0_4arch9wavefront6targetE1EEEvT1_ ; -- Begin function _ZN7rocprim17ROCPRIM_400000_NS6detail17trampoline_kernelINS0_14default_configENS1_20scan_config_selectorIfEEZZNS1_9scan_implILNS1_25lookback_scan_determinismE0ELb1ELb1ES3_N6thrust23THRUST_200600_302600_NS6detail15normal_iteratorINS9_10device_ptrIKfEEEENSB_INSC_IfEEEEfNS9_4plusIvEEfEEDaPvRmT3_T4_T5_mT6_P12ihipStream_tbENKUlT_T0_E_clISt17integral_constantIbLb0EESW_IbLb1EEEEDaSS_ST_EUlSS_E0_NS1_11comp_targetILNS1_3genE8ELNS1_11target_archE1030ELNS1_3gpuE2ELNS1_3repE0EEENS1_30default_config_static_selectorELNS0_4arch9wavefront6targetE1EEEvT1_
	.globl	_ZN7rocprim17ROCPRIM_400000_NS6detail17trampoline_kernelINS0_14default_configENS1_20scan_config_selectorIfEEZZNS1_9scan_implILNS1_25lookback_scan_determinismE0ELb1ELb1ES3_N6thrust23THRUST_200600_302600_NS6detail15normal_iteratorINS9_10device_ptrIKfEEEENSB_INSC_IfEEEEfNS9_4plusIvEEfEEDaPvRmT3_T4_T5_mT6_P12ihipStream_tbENKUlT_T0_E_clISt17integral_constantIbLb0EESW_IbLb1EEEEDaSS_ST_EUlSS_E0_NS1_11comp_targetILNS1_3genE8ELNS1_11target_archE1030ELNS1_3gpuE2ELNS1_3repE0EEENS1_30default_config_static_selectorELNS0_4arch9wavefront6targetE1EEEvT1_
	.p2align	8
	.type	_ZN7rocprim17ROCPRIM_400000_NS6detail17trampoline_kernelINS0_14default_configENS1_20scan_config_selectorIfEEZZNS1_9scan_implILNS1_25lookback_scan_determinismE0ELb1ELb1ES3_N6thrust23THRUST_200600_302600_NS6detail15normal_iteratorINS9_10device_ptrIKfEEEENSB_INSC_IfEEEEfNS9_4plusIvEEfEEDaPvRmT3_T4_T5_mT6_P12ihipStream_tbENKUlT_T0_E_clISt17integral_constantIbLb0EESW_IbLb1EEEEDaSS_ST_EUlSS_E0_NS1_11comp_targetILNS1_3genE8ELNS1_11target_archE1030ELNS1_3gpuE2ELNS1_3repE0EEENS1_30default_config_static_selectorELNS0_4arch9wavefront6targetE1EEEvT1_,@function
_ZN7rocprim17ROCPRIM_400000_NS6detail17trampoline_kernelINS0_14default_configENS1_20scan_config_selectorIfEEZZNS1_9scan_implILNS1_25lookback_scan_determinismE0ELb1ELb1ES3_N6thrust23THRUST_200600_302600_NS6detail15normal_iteratorINS9_10device_ptrIKfEEEENSB_INSC_IfEEEEfNS9_4plusIvEEfEEDaPvRmT3_T4_T5_mT6_P12ihipStream_tbENKUlT_T0_E_clISt17integral_constantIbLb0EESW_IbLb1EEEEDaSS_ST_EUlSS_E0_NS1_11comp_targetILNS1_3genE8ELNS1_11target_archE1030ELNS1_3gpuE2ELNS1_3repE0EEENS1_30default_config_static_selectorELNS0_4arch9wavefront6targetE1EEEvT1_: ; @_ZN7rocprim17ROCPRIM_400000_NS6detail17trampoline_kernelINS0_14default_configENS1_20scan_config_selectorIfEEZZNS1_9scan_implILNS1_25lookback_scan_determinismE0ELb1ELb1ES3_N6thrust23THRUST_200600_302600_NS6detail15normal_iteratorINS9_10device_ptrIKfEEEENSB_INSC_IfEEEEfNS9_4plusIvEEfEEDaPvRmT3_T4_T5_mT6_P12ihipStream_tbENKUlT_T0_E_clISt17integral_constantIbLb0EESW_IbLb1EEEEDaSS_ST_EUlSS_E0_NS1_11comp_targetILNS1_3genE8ELNS1_11target_archE1030ELNS1_3gpuE2ELNS1_3repE0EEENS1_30default_config_static_selectorELNS0_4arch9wavefront6targetE1EEEvT1_
; %bb.0:
	.section	.rodata,"a",@progbits
	.p2align	6, 0x0
	.amdhsa_kernel _ZN7rocprim17ROCPRIM_400000_NS6detail17trampoline_kernelINS0_14default_configENS1_20scan_config_selectorIfEEZZNS1_9scan_implILNS1_25lookback_scan_determinismE0ELb1ELb1ES3_N6thrust23THRUST_200600_302600_NS6detail15normal_iteratorINS9_10device_ptrIKfEEEENSB_INSC_IfEEEEfNS9_4plusIvEEfEEDaPvRmT3_T4_T5_mT6_P12ihipStream_tbENKUlT_T0_E_clISt17integral_constantIbLb0EESW_IbLb1EEEEDaSS_ST_EUlSS_E0_NS1_11comp_targetILNS1_3genE8ELNS1_11target_archE1030ELNS1_3gpuE2ELNS1_3repE0EEENS1_30default_config_static_selectorELNS0_4arch9wavefront6targetE1EEEvT1_
		.amdhsa_group_segment_fixed_size 0
		.amdhsa_private_segment_fixed_size 0
		.amdhsa_kernarg_size 32
		.amdhsa_user_sgpr_count 2
		.amdhsa_user_sgpr_dispatch_ptr 0
		.amdhsa_user_sgpr_queue_ptr 0
		.amdhsa_user_sgpr_kernarg_segment_ptr 1
		.amdhsa_user_sgpr_dispatch_id 0
		.amdhsa_user_sgpr_kernarg_preload_length 0
		.amdhsa_user_sgpr_kernarg_preload_offset 0
		.amdhsa_user_sgpr_private_segment_size 0
		.amdhsa_uses_dynamic_stack 0
		.amdhsa_enable_private_segment 0
		.amdhsa_system_sgpr_workgroup_id_x 1
		.amdhsa_system_sgpr_workgroup_id_y 0
		.amdhsa_system_sgpr_workgroup_id_z 0
		.amdhsa_system_sgpr_workgroup_info 0
		.amdhsa_system_vgpr_workitem_id 0
		.amdhsa_next_free_vgpr 1
		.amdhsa_next_free_sgpr 0
		.amdhsa_accum_offset 4
		.amdhsa_reserve_vcc 0
		.amdhsa_float_round_mode_32 0
		.amdhsa_float_round_mode_16_64 0
		.amdhsa_float_denorm_mode_32 3
		.amdhsa_float_denorm_mode_16_64 3
		.amdhsa_dx10_clamp 1
		.amdhsa_ieee_mode 1
		.amdhsa_fp16_overflow 0
		.amdhsa_tg_split 0
		.amdhsa_exception_fp_ieee_invalid_op 0
		.amdhsa_exception_fp_denorm_src 0
		.amdhsa_exception_fp_ieee_div_zero 0
		.amdhsa_exception_fp_ieee_overflow 0
		.amdhsa_exception_fp_ieee_underflow 0
		.amdhsa_exception_fp_ieee_inexact 0
		.amdhsa_exception_int_div_zero 0
	.end_amdhsa_kernel
	.section	.text._ZN7rocprim17ROCPRIM_400000_NS6detail17trampoline_kernelINS0_14default_configENS1_20scan_config_selectorIfEEZZNS1_9scan_implILNS1_25lookback_scan_determinismE0ELb1ELb1ES3_N6thrust23THRUST_200600_302600_NS6detail15normal_iteratorINS9_10device_ptrIKfEEEENSB_INSC_IfEEEEfNS9_4plusIvEEfEEDaPvRmT3_T4_T5_mT6_P12ihipStream_tbENKUlT_T0_E_clISt17integral_constantIbLb0EESW_IbLb1EEEEDaSS_ST_EUlSS_E0_NS1_11comp_targetILNS1_3genE8ELNS1_11target_archE1030ELNS1_3gpuE2ELNS1_3repE0EEENS1_30default_config_static_selectorELNS0_4arch9wavefront6targetE1EEEvT1_,"axG",@progbits,_ZN7rocprim17ROCPRIM_400000_NS6detail17trampoline_kernelINS0_14default_configENS1_20scan_config_selectorIfEEZZNS1_9scan_implILNS1_25lookback_scan_determinismE0ELb1ELb1ES3_N6thrust23THRUST_200600_302600_NS6detail15normal_iteratorINS9_10device_ptrIKfEEEENSB_INSC_IfEEEEfNS9_4plusIvEEfEEDaPvRmT3_T4_T5_mT6_P12ihipStream_tbENKUlT_T0_E_clISt17integral_constantIbLb0EESW_IbLb1EEEEDaSS_ST_EUlSS_E0_NS1_11comp_targetILNS1_3genE8ELNS1_11target_archE1030ELNS1_3gpuE2ELNS1_3repE0EEENS1_30default_config_static_selectorELNS0_4arch9wavefront6targetE1EEEvT1_,comdat
.Lfunc_end84:
	.size	_ZN7rocprim17ROCPRIM_400000_NS6detail17trampoline_kernelINS0_14default_configENS1_20scan_config_selectorIfEEZZNS1_9scan_implILNS1_25lookback_scan_determinismE0ELb1ELb1ES3_N6thrust23THRUST_200600_302600_NS6detail15normal_iteratorINS9_10device_ptrIKfEEEENSB_INSC_IfEEEEfNS9_4plusIvEEfEEDaPvRmT3_T4_T5_mT6_P12ihipStream_tbENKUlT_T0_E_clISt17integral_constantIbLb0EESW_IbLb1EEEEDaSS_ST_EUlSS_E0_NS1_11comp_targetILNS1_3genE8ELNS1_11target_archE1030ELNS1_3gpuE2ELNS1_3repE0EEENS1_30default_config_static_selectorELNS0_4arch9wavefront6targetE1EEEvT1_, .Lfunc_end84-_ZN7rocprim17ROCPRIM_400000_NS6detail17trampoline_kernelINS0_14default_configENS1_20scan_config_selectorIfEEZZNS1_9scan_implILNS1_25lookback_scan_determinismE0ELb1ELb1ES3_N6thrust23THRUST_200600_302600_NS6detail15normal_iteratorINS9_10device_ptrIKfEEEENSB_INSC_IfEEEEfNS9_4plusIvEEfEEDaPvRmT3_T4_T5_mT6_P12ihipStream_tbENKUlT_T0_E_clISt17integral_constantIbLb0EESW_IbLb1EEEEDaSS_ST_EUlSS_E0_NS1_11comp_targetILNS1_3genE8ELNS1_11target_archE1030ELNS1_3gpuE2ELNS1_3repE0EEENS1_30default_config_static_selectorELNS0_4arch9wavefront6targetE1EEEvT1_
                                        ; -- End function
	.section	.AMDGPU.csdata,"",@progbits
; Kernel info:
; codeLenInByte = 0
; NumSgprs: 6
; NumVgprs: 0
; NumAgprs: 0
; TotalNumVgprs: 0
; ScratchSize: 0
; MemoryBound: 0
; FloatMode: 240
; IeeeMode: 1
; LDSByteSize: 0 bytes/workgroup (compile time only)
; SGPRBlocks: 0
; VGPRBlocks: 0
; NumSGPRsForWavesPerEU: 6
; NumVGPRsForWavesPerEU: 1
; AccumOffset: 4
; Occupancy: 8
; WaveLimiterHint : 0
; COMPUTE_PGM_RSRC2:SCRATCH_EN: 0
; COMPUTE_PGM_RSRC2:USER_SGPR: 2
; COMPUTE_PGM_RSRC2:TRAP_HANDLER: 0
; COMPUTE_PGM_RSRC2:TGID_X_EN: 1
; COMPUTE_PGM_RSRC2:TGID_Y_EN: 0
; COMPUTE_PGM_RSRC2:TGID_Z_EN: 0
; COMPUTE_PGM_RSRC2:TIDIG_COMP_CNT: 0
; COMPUTE_PGM_RSRC3_GFX90A:ACCUM_OFFSET: 0
; COMPUTE_PGM_RSRC3_GFX90A:TG_SPLIT: 0
	.section	.text._ZN6thrust23THRUST_200600_302600_NS11hip_rocprim14__parallel_for6kernelILj256ENS1_11__transform18binary_transform_fINS0_6detail15normal_iteratorINS0_10device_ptrIfEEEESA_SA_NS4_14no_stencil_tagE16minus_and_divideIfENS4_21always_true_predicateEEElLj1EEEvT0_T1_SH_,"axG",@progbits,_ZN6thrust23THRUST_200600_302600_NS11hip_rocprim14__parallel_for6kernelILj256ENS1_11__transform18binary_transform_fINS0_6detail15normal_iteratorINS0_10device_ptrIfEEEESA_SA_NS4_14no_stencil_tagE16minus_and_divideIfENS4_21always_true_predicateEEElLj1EEEvT0_T1_SH_,comdat
	.protected	_ZN6thrust23THRUST_200600_302600_NS11hip_rocprim14__parallel_for6kernelILj256ENS1_11__transform18binary_transform_fINS0_6detail15normal_iteratorINS0_10device_ptrIfEEEESA_SA_NS4_14no_stencil_tagE16minus_and_divideIfENS4_21always_true_predicateEEElLj1EEEvT0_T1_SH_ ; -- Begin function _ZN6thrust23THRUST_200600_302600_NS11hip_rocprim14__parallel_for6kernelILj256ENS1_11__transform18binary_transform_fINS0_6detail15normal_iteratorINS0_10device_ptrIfEEEESA_SA_NS4_14no_stencil_tagE16minus_and_divideIfENS4_21always_true_predicateEEElLj1EEEvT0_T1_SH_
	.globl	_ZN6thrust23THRUST_200600_302600_NS11hip_rocprim14__parallel_for6kernelILj256ENS1_11__transform18binary_transform_fINS0_6detail15normal_iteratorINS0_10device_ptrIfEEEESA_SA_NS4_14no_stencil_tagE16minus_and_divideIfENS4_21always_true_predicateEEElLj1EEEvT0_T1_SH_
	.p2align	8
	.type	_ZN6thrust23THRUST_200600_302600_NS11hip_rocprim14__parallel_for6kernelILj256ENS1_11__transform18binary_transform_fINS0_6detail15normal_iteratorINS0_10device_ptrIfEEEESA_SA_NS4_14no_stencil_tagE16minus_and_divideIfENS4_21always_true_predicateEEElLj1EEEvT0_T1_SH_,@function
_ZN6thrust23THRUST_200600_302600_NS11hip_rocprim14__parallel_for6kernelILj256ENS1_11__transform18binary_transform_fINS0_6detail15normal_iteratorINS0_10device_ptrIfEEEESA_SA_NS4_14no_stencil_tagE16minus_and_divideIfENS4_21always_true_predicateEEElLj1EEEvT0_T1_SH_: ; @_ZN6thrust23THRUST_200600_302600_NS11hip_rocprim14__parallel_for6kernelILj256ENS1_11__transform18binary_transform_fINS0_6detail15normal_iteratorINS0_10device_ptrIfEEEESA_SA_NS4_14no_stencil_tagE16minus_and_divideIfENS4_21always_true_predicateEEElLj1EEEvT0_T1_SH_
; %bb.0:
	s_load_dwordx4 s[4:7], s[0:1], 0x20
	s_lshl_b32 s2, s2, 8
	v_mov_b64_e32 v[2:3], 0x100
	s_waitcnt lgkmcnt(0)
	s_add_u32 s2, s2, s6
	s_addc_u32 s3, 0, s7
	s_sub_u32 s4, s4, s2
	s_subb_u32 s5, s5, s3
	v_cmp_lt_i64_e32 vcc, s[4:5], v[2:3]
	s_and_b64 s[6:7], vcc, exec
	s_cselect_b32 s6, s4, 0x100
	s_cmpk_eq_i32 s6, 0x100
	s_cselect_b64 s[4:5], -1, 0
	v_cmp_gt_u32_e32 vcc, s6, v0
	s_or_b64 s[4:5], s[4:5], vcc
	s_and_saveexec_b64 s[6:7], s[4:5]
	s_cbranch_execz .LBB85_2
; %bb.1:
	s_load_dwordx4 s[4:7], s[0:1], 0x0
	s_load_dwordx2 s[8:9], s[0:1], 0x10
	v_mov_b32_e32 v1, 0
	v_lshl_add_u64 v[0:1], s[2:3], 0, v[0:1]
	v_lshlrev_b64 v[0:1], 2, v[0:1]
	s_waitcnt lgkmcnt(0)
	v_lshl_add_u64 v[2:3], s[4:5], 0, v[0:1]
	v_lshl_add_u64 v[4:5], s[6:7], 0, v[0:1]
	flat_load_dword v6, v[2:3]
	flat_load_dword v7, v[4:5]
	s_load_dword s2, s[0:1], 0x18
	v_lshl_add_u64 v[0:1], s[8:9], 0, v[0:1]
	s_waitcnt vmcnt(0) lgkmcnt(0)
	v_sub_f32_e32 v2, v6, v7
	v_div_scale_f32 v3, s[0:1], s2, s2, v2
	v_rcp_f32_e32 v4, v3
	v_div_scale_f32 v5, vcc, v2, s2, v2
	v_fma_f32 v6, -v3, v4, 1.0
	v_fmac_f32_e32 v4, v6, v4
	v_mul_f32_e32 v6, v5, v4
	v_fma_f32 v7, -v3, v6, v5
	v_fmac_f32_e32 v6, v7, v4
	v_fma_f32 v3, -v3, v6, v5
	v_div_fmas_f32 v3, v3, v4, v6
	v_div_fixup_f32 v2, v3, s2, v2
	flat_store_dword v[0:1], v2
.LBB85_2:
	s_endpgm
	.section	.rodata,"a",@progbits
	.p2align	6, 0x0
	.amdhsa_kernel _ZN6thrust23THRUST_200600_302600_NS11hip_rocprim14__parallel_for6kernelILj256ENS1_11__transform18binary_transform_fINS0_6detail15normal_iteratorINS0_10device_ptrIfEEEESA_SA_NS4_14no_stencil_tagE16minus_and_divideIfENS4_21always_true_predicateEEElLj1EEEvT0_T1_SH_
		.amdhsa_group_segment_fixed_size 0
		.amdhsa_private_segment_fixed_size 0
		.amdhsa_kernarg_size 48
		.amdhsa_user_sgpr_count 2
		.amdhsa_user_sgpr_dispatch_ptr 0
		.amdhsa_user_sgpr_queue_ptr 0
		.amdhsa_user_sgpr_kernarg_segment_ptr 1
		.amdhsa_user_sgpr_dispatch_id 0
		.amdhsa_user_sgpr_kernarg_preload_length 0
		.amdhsa_user_sgpr_kernarg_preload_offset 0
		.amdhsa_user_sgpr_private_segment_size 0
		.amdhsa_uses_dynamic_stack 0
		.amdhsa_enable_private_segment 0
		.amdhsa_system_sgpr_workgroup_id_x 1
		.amdhsa_system_sgpr_workgroup_id_y 0
		.amdhsa_system_sgpr_workgroup_id_z 0
		.amdhsa_system_sgpr_workgroup_info 0
		.amdhsa_system_vgpr_workitem_id 0
		.amdhsa_next_free_vgpr 8
		.amdhsa_next_free_sgpr 10
		.amdhsa_accum_offset 8
		.amdhsa_reserve_vcc 1
		.amdhsa_float_round_mode_32 0
		.amdhsa_float_round_mode_16_64 0
		.amdhsa_float_denorm_mode_32 3
		.amdhsa_float_denorm_mode_16_64 3
		.amdhsa_dx10_clamp 1
		.amdhsa_ieee_mode 1
		.amdhsa_fp16_overflow 0
		.amdhsa_tg_split 0
		.amdhsa_exception_fp_ieee_invalid_op 0
		.amdhsa_exception_fp_denorm_src 0
		.amdhsa_exception_fp_ieee_div_zero 0
		.amdhsa_exception_fp_ieee_overflow 0
		.amdhsa_exception_fp_ieee_underflow 0
		.amdhsa_exception_fp_ieee_inexact 0
		.amdhsa_exception_int_div_zero 0
	.end_amdhsa_kernel
	.section	.text._ZN6thrust23THRUST_200600_302600_NS11hip_rocprim14__parallel_for6kernelILj256ENS1_11__transform18binary_transform_fINS0_6detail15normal_iteratorINS0_10device_ptrIfEEEESA_SA_NS4_14no_stencil_tagE16minus_and_divideIfENS4_21always_true_predicateEEElLj1EEEvT0_T1_SH_,"axG",@progbits,_ZN6thrust23THRUST_200600_302600_NS11hip_rocprim14__parallel_for6kernelILj256ENS1_11__transform18binary_transform_fINS0_6detail15normal_iteratorINS0_10device_ptrIfEEEESA_SA_NS4_14no_stencil_tagE16minus_and_divideIfENS4_21always_true_predicateEEElLj1EEEvT0_T1_SH_,comdat
.Lfunc_end85:
	.size	_ZN6thrust23THRUST_200600_302600_NS11hip_rocprim14__parallel_for6kernelILj256ENS1_11__transform18binary_transform_fINS0_6detail15normal_iteratorINS0_10device_ptrIfEEEESA_SA_NS4_14no_stencil_tagE16minus_and_divideIfENS4_21always_true_predicateEEElLj1EEEvT0_T1_SH_, .Lfunc_end85-_ZN6thrust23THRUST_200600_302600_NS11hip_rocprim14__parallel_for6kernelILj256ENS1_11__transform18binary_transform_fINS0_6detail15normal_iteratorINS0_10device_ptrIfEEEESA_SA_NS4_14no_stencil_tagE16minus_and_divideIfENS4_21always_true_predicateEEElLj1EEEvT0_T1_SH_
                                        ; -- End function
	.section	.AMDGPU.csdata,"",@progbits
; Kernel info:
; codeLenInByte = 260
; NumSgprs: 16
; NumVgprs: 8
; NumAgprs: 0
; TotalNumVgprs: 8
; ScratchSize: 0
; MemoryBound: 0
; FloatMode: 240
; IeeeMode: 1
; LDSByteSize: 0 bytes/workgroup (compile time only)
; SGPRBlocks: 1
; VGPRBlocks: 0
; NumSGPRsForWavesPerEU: 16
; NumVGPRsForWavesPerEU: 8
; AccumOffset: 8
; Occupancy: 8
; WaveLimiterHint : 0
; COMPUTE_PGM_RSRC2:SCRATCH_EN: 0
; COMPUTE_PGM_RSRC2:USER_SGPR: 2
; COMPUTE_PGM_RSRC2:TRAP_HANDLER: 0
; COMPUTE_PGM_RSRC2:TGID_X_EN: 1
; COMPUTE_PGM_RSRC2:TGID_Y_EN: 0
; COMPUTE_PGM_RSRC2:TGID_Z_EN: 0
; COMPUTE_PGM_RSRC2:TIDIG_COMP_CNT: 0
; COMPUTE_PGM_RSRC3_GFX90A:ACCUM_OFFSET: 1
; COMPUTE_PGM_RSRC3_GFX90A:TG_SPLIT: 0
	.text
	.p2alignl 6, 3212836864
	.fill 256, 4, 3212836864
	.type	__hip_cuid_8adcba4de2cae7c9,@object ; @__hip_cuid_8adcba4de2cae7c9
	.section	.bss,"aw",@nobits
	.globl	__hip_cuid_8adcba4de2cae7c9
__hip_cuid_8adcba4de2cae7c9:
	.byte	0                               ; 0x0
	.size	__hip_cuid_8adcba4de2cae7c9, 1

	.ident	"AMD clang version 19.0.0git (https://github.com/RadeonOpenCompute/llvm-project roc-6.4.0 25133 c7fe45cf4b819c5991fe208aaa96edf142730f1d)"
	.section	".note.GNU-stack","",@progbits
	.addrsig
	.addrsig_sym __hip_cuid_8adcba4de2cae7c9
	.amdgpu_metadata
---
amdhsa.kernels:
  - .agpr_count:     0
    .args:
      - .offset:         0
        .size:           16
        .value_kind:     by_value
      - .offset:         16
        .size:           8
        .value_kind:     by_value
      - .offset:         24
        .size:           8
        .value_kind:     by_value
    .group_segment_fixed_size: 0
    .kernarg_segment_align: 8
    .kernarg_segment_size: 32
    .language:       OpenCL C
    .language_version:
      - 2
      - 0
    .max_flat_workgroup_size: 256
    .name:           _ZN6thrust23THRUST_200600_302600_NS11hip_rocprim14__parallel_for6kernelILj256ENS1_20__uninitialized_fill7functorINS0_10device_ptrIfEEfEEmLj1EEEvT0_T1_SA_
    .private_segment_fixed_size: 0
    .sgpr_count:     14
    .sgpr_spill_count: 0
    .symbol:         _ZN6thrust23THRUST_200600_302600_NS11hip_rocprim14__parallel_for6kernelILj256ENS1_20__uninitialized_fill7functorINS0_10device_ptrIfEEfEEmLj1EEEvT0_T1_SA_.kd
    .uniform_work_group_size: 1
    .uses_dynamic_stack: false
    .vgpr_count:     4
    .vgpr_spill_count: 0
    .wavefront_size: 64
  - .agpr_count:     0
    .args:
      - .address_space:  global
        .offset:         0
        .size:           8
        .value_kind:     global_buffer
      - .offset:         8
        .size:           4
        .value_kind:     by_value
      - .offset:         12
        .size:           1
        .value_kind:     by_value
      - .offset:         16
        .size:           4
        .value_kind:     by_value
      - .address_space:  global
        .offset:         24
        .size:           8
        .value_kind:     global_buffer
      - .offset:         32
        .size:           4
        .value_kind:     hidden_block_count_x
      - .offset:         36
        .size:           4
        .value_kind:     hidden_block_count_y
      - .offset:         40
        .size:           4
        .value_kind:     hidden_block_count_z
      - .offset:         44
        .size:           2
        .value_kind:     hidden_group_size_x
      - .offset:         46
        .size:           2
        .value_kind:     hidden_group_size_y
      - .offset:         48
        .size:           2
        .value_kind:     hidden_group_size_z
      - .offset:         50
        .size:           2
        .value_kind:     hidden_remainder_x
      - .offset:         52
        .size:           2
        .value_kind:     hidden_remainder_y
      - .offset:         54
        .size:           2
        .value_kind:     hidden_remainder_z
      - .offset:         72
        .size:           8
        .value_kind:     hidden_global_offset_x
      - .offset:         80
        .size:           8
        .value_kind:     hidden_global_offset_y
      - .offset:         88
        .size:           8
        .value_kind:     hidden_global_offset_z
      - .offset:         96
        .size:           2
        .value_kind:     hidden_grid_dims
    .group_segment_fixed_size: 0
    .kernarg_segment_align: 8
    .kernarg_segment_size: 288
    .language:       OpenCL C
    .language_version:
      - 2
      - 0
    .max_flat_workgroup_size: 256
    .name:           _ZN7rocprim17ROCPRIM_400000_NS6detail31init_lookback_scan_state_kernelINS1_19lookback_scan_stateIfLb0ELb1EEENS1_16block_id_wrapperIjLb0EEEEEvT_jT0_jPNS7_10value_typeE
    .private_segment_fixed_size: 0
    .sgpr_count:     15
    .sgpr_spill_count: 0
    .symbol:         _ZN7rocprim17ROCPRIM_400000_NS6detail31init_lookback_scan_state_kernelINS1_19lookback_scan_stateIfLb0ELb1EEENS1_16block_id_wrapperIjLb0EEEEEvT_jT0_jPNS7_10value_typeE.kd
    .uniform_work_group_size: 1
    .uses_dynamic_stack: false
    .vgpr_count:     6
    .vgpr_spill_count: 0
    .wavefront_size: 64
  - .agpr_count:     0
    .args:
      - .offset:         0
        .size:           96
        .value_kind:     by_value
    .group_segment_fixed_size: 0
    .kernarg_segment_align: 8
    .kernarg_segment_size: 96
    .language:       OpenCL C
    .language_version:
      - 2
      - 0
    .max_flat_workgroup_size: 256
    .name:           _ZN7rocprim17ROCPRIM_400000_NS6detail17trampoline_kernelINS0_14default_configENS1_20scan_config_selectorIfEEZZNS1_9scan_implILNS1_25lookback_scan_determinismE0ELb1ELb1ES3_N6thrust23THRUST_200600_302600_NS6detail15normal_iteratorINS9_10device_ptrIKfEEEENSB_INSC_IfEEEEfNS9_4plusIvEEfEEDaPvRmT3_T4_T5_mT6_P12ihipStream_tbENKUlT_T0_E_clISt17integral_constantIbLb0EESX_EEDaSS_ST_EUlSS_E_NS1_11comp_targetILNS1_3genE0ELNS1_11target_archE4294967295ELNS1_3gpuE0ELNS1_3repE0EEENS1_30default_config_static_selectorELNS0_4arch9wavefront6targetE1EEEvT1_
    .private_segment_fixed_size: 0
    .sgpr_count:     6
    .sgpr_spill_count: 0
    .symbol:         _ZN7rocprim17ROCPRIM_400000_NS6detail17trampoline_kernelINS0_14default_configENS1_20scan_config_selectorIfEEZZNS1_9scan_implILNS1_25lookback_scan_determinismE0ELb1ELb1ES3_N6thrust23THRUST_200600_302600_NS6detail15normal_iteratorINS9_10device_ptrIKfEEEENSB_INSC_IfEEEEfNS9_4plusIvEEfEEDaPvRmT3_T4_T5_mT6_P12ihipStream_tbENKUlT_T0_E_clISt17integral_constantIbLb0EESX_EEDaSS_ST_EUlSS_E_NS1_11comp_targetILNS1_3genE0ELNS1_11target_archE4294967295ELNS1_3gpuE0ELNS1_3repE0EEENS1_30default_config_static_selectorELNS0_4arch9wavefront6targetE1EEEvT1_.kd
    .uniform_work_group_size: 1
    .uses_dynamic_stack: false
    .vgpr_count:     0
    .vgpr_spill_count: 0
    .wavefront_size: 64
  - .agpr_count:     0
    .args:
      - .offset:         0
        .size:           96
        .value_kind:     by_value
    .group_segment_fixed_size: 24576
    .kernarg_segment_align: 8
    .kernarg_segment_size: 96
    .language:       OpenCL C
    .language_version:
      - 2
      - 0
    .max_flat_workgroup_size: 256
    .name:           _ZN7rocprim17ROCPRIM_400000_NS6detail17trampoline_kernelINS0_14default_configENS1_20scan_config_selectorIfEEZZNS1_9scan_implILNS1_25lookback_scan_determinismE0ELb1ELb1ES3_N6thrust23THRUST_200600_302600_NS6detail15normal_iteratorINS9_10device_ptrIKfEEEENSB_INSC_IfEEEEfNS9_4plusIvEEfEEDaPvRmT3_T4_T5_mT6_P12ihipStream_tbENKUlT_T0_E_clISt17integral_constantIbLb0EESX_EEDaSS_ST_EUlSS_E_NS1_11comp_targetILNS1_3genE5ELNS1_11target_archE942ELNS1_3gpuE9ELNS1_3repE0EEENS1_30default_config_static_selectorELNS0_4arch9wavefront6targetE1EEEvT1_
    .private_segment_fixed_size: 0
    .sgpr_count:     38
    .sgpr_spill_count: 0
    .symbol:         _ZN7rocprim17ROCPRIM_400000_NS6detail17trampoline_kernelINS0_14default_configENS1_20scan_config_selectorIfEEZZNS1_9scan_implILNS1_25lookback_scan_determinismE0ELb1ELb1ES3_N6thrust23THRUST_200600_302600_NS6detail15normal_iteratorINS9_10device_ptrIKfEEEENSB_INSC_IfEEEEfNS9_4plusIvEEfEEDaPvRmT3_T4_T5_mT6_P12ihipStream_tbENKUlT_T0_E_clISt17integral_constantIbLb0EESX_EEDaSS_ST_EUlSS_E_NS1_11comp_targetILNS1_3genE5ELNS1_11target_archE942ELNS1_3gpuE9ELNS1_3repE0EEENS1_30default_config_static_selectorELNS0_4arch9wavefront6targetE1EEEvT1_.kd
    .uniform_work_group_size: 1
    .uses_dynamic_stack: false
    .vgpr_count:     59
    .vgpr_spill_count: 0
    .wavefront_size: 64
  - .agpr_count:     0
    .args:
      - .offset:         0
        .size:           96
        .value_kind:     by_value
    .group_segment_fixed_size: 0
    .kernarg_segment_align: 8
    .kernarg_segment_size: 96
    .language:       OpenCL C
    .language_version:
      - 2
      - 0
    .max_flat_workgroup_size: 128
    .name:           _ZN7rocprim17ROCPRIM_400000_NS6detail17trampoline_kernelINS0_14default_configENS1_20scan_config_selectorIfEEZZNS1_9scan_implILNS1_25lookback_scan_determinismE0ELb1ELb1ES3_N6thrust23THRUST_200600_302600_NS6detail15normal_iteratorINS9_10device_ptrIKfEEEENSB_INSC_IfEEEEfNS9_4plusIvEEfEEDaPvRmT3_T4_T5_mT6_P12ihipStream_tbENKUlT_T0_E_clISt17integral_constantIbLb0EESX_EEDaSS_ST_EUlSS_E_NS1_11comp_targetILNS1_3genE4ELNS1_11target_archE910ELNS1_3gpuE8ELNS1_3repE0EEENS1_30default_config_static_selectorELNS0_4arch9wavefront6targetE1EEEvT1_
    .private_segment_fixed_size: 0
    .sgpr_count:     6
    .sgpr_spill_count: 0
    .symbol:         _ZN7rocprim17ROCPRIM_400000_NS6detail17trampoline_kernelINS0_14default_configENS1_20scan_config_selectorIfEEZZNS1_9scan_implILNS1_25lookback_scan_determinismE0ELb1ELb1ES3_N6thrust23THRUST_200600_302600_NS6detail15normal_iteratorINS9_10device_ptrIKfEEEENSB_INSC_IfEEEEfNS9_4plusIvEEfEEDaPvRmT3_T4_T5_mT6_P12ihipStream_tbENKUlT_T0_E_clISt17integral_constantIbLb0EESX_EEDaSS_ST_EUlSS_E_NS1_11comp_targetILNS1_3genE4ELNS1_11target_archE910ELNS1_3gpuE8ELNS1_3repE0EEENS1_30default_config_static_selectorELNS0_4arch9wavefront6targetE1EEEvT1_.kd
    .uniform_work_group_size: 1
    .uses_dynamic_stack: false
    .vgpr_count:     0
    .vgpr_spill_count: 0
    .wavefront_size: 64
  - .agpr_count:     0
    .args:
      - .offset:         0
        .size:           96
        .value_kind:     by_value
    .group_segment_fixed_size: 0
    .kernarg_segment_align: 8
    .kernarg_segment_size: 96
    .language:       OpenCL C
    .language_version:
      - 2
      - 0
    .max_flat_workgroup_size: 256
    .name:           _ZN7rocprim17ROCPRIM_400000_NS6detail17trampoline_kernelINS0_14default_configENS1_20scan_config_selectorIfEEZZNS1_9scan_implILNS1_25lookback_scan_determinismE0ELb1ELb1ES3_N6thrust23THRUST_200600_302600_NS6detail15normal_iteratorINS9_10device_ptrIKfEEEENSB_INSC_IfEEEEfNS9_4plusIvEEfEEDaPvRmT3_T4_T5_mT6_P12ihipStream_tbENKUlT_T0_E_clISt17integral_constantIbLb0EESX_EEDaSS_ST_EUlSS_E_NS1_11comp_targetILNS1_3genE3ELNS1_11target_archE908ELNS1_3gpuE7ELNS1_3repE0EEENS1_30default_config_static_selectorELNS0_4arch9wavefront6targetE1EEEvT1_
    .private_segment_fixed_size: 0
    .sgpr_count:     6
    .sgpr_spill_count: 0
    .symbol:         _ZN7rocprim17ROCPRIM_400000_NS6detail17trampoline_kernelINS0_14default_configENS1_20scan_config_selectorIfEEZZNS1_9scan_implILNS1_25lookback_scan_determinismE0ELb1ELb1ES3_N6thrust23THRUST_200600_302600_NS6detail15normal_iteratorINS9_10device_ptrIKfEEEENSB_INSC_IfEEEEfNS9_4plusIvEEfEEDaPvRmT3_T4_T5_mT6_P12ihipStream_tbENKUlT_T0_E_clISt17integral_constantIbLb0EESX_EEDaSS_ST_EUlSS_E_NS1_11comp_targetILNS1_3genE3ELNS1_11target_archE908ELNS1_3gpuE7ELNS1_3repE0EEENS1_30default_config_static_selectorELNS0_4arch9wavefront6targetE1EEEvT1_.kd
    .uniform_work_group_size: 1
    .uses_dynamic_stack: false
    .vgpr_count:     0
    .vgpr_spill_count: 0
    .wavefront_size: 64
  - .agpr_count:     0
    .args:
      - .offset:         0
        .size:           96
        .value_kind:     by_value
    .group_segment_fixed_size: 0
    .kernarg_segment_align: 8
    .kernarg_segment_size: 96
    .language:       OpenCL C
    .language_version:
      - 2
      - 0
    .max_flat_workgroup_size: 256
    .name:           _ZN7rocprim17ROCPRIM_400000_NS6detail17trampoline_kernelINS0_14default_configENS1_20scan_config_selectorIfEEZZNS1_9scan_implILNS1_25lookback_scan_determinismE0ELb1ELb1ES3_N6thrust23THRUST_200600_302600_NS6detail15normal_iteratorINS9_10device_ptrIKfEEEENSB_INSC_IfEEEEfNS9_4plusIvEEfEEDaPvRmT3_T4_T5_mT6_P12ihipStream_tbENKUlT_T0_E_clISt17integral_constantIbLb0EESX_EEDaSS_ST_EUlSS_E_NS1_11comp_targetILNS1_3genE2ELNS1_11target_archE906ELNS1_3gpuE6ELNS1_3repE0EEENS1_30default_config_static_selectorELNS0_4arch9wavefront6targetE1EEEvT1_
    .private_segment_fixed_size: 0
    .sgpr_count:     6
    .sgpr_spill_count: 0
    .symbol:         _ZN7rocprim17ROCPRIM_400000_NS6detail17trampoline_kernelINS0_14default_configENS1_20scan_config_selectorIfEEZZNS1_9scan_implILNS1_25lookback_scan_determinismE0ELb1ELb1ES3_N6thrust23THRUST_200600_302600_NS6detail15normal_iteratorINS9_10device_ptrIKfEEEENSB_INSC_IfEEEEfNS9_4plusIvEEfEEDaPvRmT3_T4_T5_mT6_P12ihipStream_tbENKUlT_T0_E_clISt17integral_constantIbLb0EESX_EEDaSS_ST_EUlSS_E_NS1_11comp_targetILNS1_3genE2ELNS1_11target_archE906ELNS1_3gpuE6ELNS1_3repE0EEENS1_30default_config_static_selectorELNS0_4arch9wavefront6targetE1EEEvT1_.kd
    .uniform_work_group_size: 1
    .uses_dynamic_stack: false
    .vgpr_count:     0
    .vgpr_spill_count: 0
    .wavefront_size: 64
  - .agpr_count:     0
    .args:
      - .offset:         0
        .size:           96
        .value_kind:     by_value
    .group_segment_fixed_size: 0
    .kernarg_segment_align: 8
    .kernarg_segment_size: 96
    .language:       OpenCL C
    .language_version:
      - 2
      - 0
    .max_flat_workgroup_size: 256
    .name:           _ZN7rocprim17ROCPRIM_400000_NS6detail17trampoline_kernelINS0_14default_configENS1_20scan_config_selectorIfEEZZNS1_9scan_implILNS1_25lookback_scan_determinismE0ELb1ELb1ES3_N6thrust23THRUST_200600_302600_NS6detail15normal_iteratorINS9_10device_ptrIKfEEEENSB_INSC_IfEEEEfNS9_4plusIvEEfEEDaPvRmT3_T4_T5_mT6_P12ihipStream_tbENKUlT_T0_E_clISt17integral_constantIbLb0EESX_EEDaSS_ST_EUlSS_E_NS1_11comp_targetILNS1_3genE10ELNS1_11target_archE1201ELNS1_3gpuE5ELNS1_3repE0EEENS1_30default_config_static_selectorELNS0_4arch9wavefront6targetE1EEEvT1_
    .private_segment_fixed_size: 0
    .sgpr_count:     6
    .sgpr_spill_count: 0
    .symbol:         _ZN7rocprim17ROCPRIM_400000_NS6detail17trampoline_kernelINS0_14default_configENS1_20scan_config_selectorIfEEZZNS1_9scan_implILNS1_25lookback_scan_determinismE0ELb1ELb1ES3_N6thrust23THRUST_200600_302600_NS6detail15normal_iteratorINS9_10device_ptrIKfEEEENSB_INSC_IfEEEEfNS9_4plusIvEEfEEDaPvRmT3_T4_T5_mT6_P12ihipStream_tbENKUlT_T0_E_clISt17integral_constantIbLb0EESX_EEDaSS_ST_EUlSS_E_NS1_11comp_targetILNS1_3genE10ELNS1_11target_archE1201ELNS1_3gpuE5ELNS1_3repE0EEENS1_30default_config_static_selectorELNS0_4arch9wavefront6targetE1EEEvT1_.kd
    .uniform_work_group_size: 1
    .uses_dynamic_stack: false
    .vgpr_count:     0
    .vgpr_spill_count: 0
    .wavefront_size: 64
  - .agpr_count:     0
    .args:
      - .offset:         0
        .size:           96
        .value_kind:     by_value
    .group_segment_fixed_size: 0
    .kernarg_segment_align: 8
    .kernarg_segment_size: 96
    .language:       OpenCL C
    .language_version:
      - 2
      - 0
    .max_flat_workgroup_size: 256
    .name:           _ZN7rocprim17ROCPRIM_400000_NS6detail17trampoline_kernelINS0_14default_configENS1_20scan_config_selectorIfEEZZNS1_9scan_implILNS1_25lookback_scan_determinismE0ELb1ELb1ES3_N6thrust23THRUST_200600_302600_NS6detail15normal_iteratorINS9_10device_ptrIKfEEEENSB_INSC_IfEEEEfNS9_4plusIvEEfEEDaPvRmT3_T4_T5_mT6_P12ihipStream_tbENKUlT_T0_E_clISt17integral_constantIbLb0EESX_EEDaSS_ST_EUlSS_E_NS1_11comp_targetILNS1_3genE10ELNS1_11target_archE1200ELNS1_3gpuE4ELNS1_3repE0EEENS1_30default_config_static_selectorELNS0_4arch9wavefront6targetE1EEEvT1_
    .private_segment_fixed_size: 0
    .sgpr_count:     6
    .sgpr_spill_count: 0
    .symbol:         _ZN7rocprim17ROCPRIM_400000_NS6detail17trampoline_kernelINS0_14default_configENS1_20scan_config_selectorIfEEZZNS1_9scan_implILNS1_25lookback_scan_determinismE0ELb1ELb1ES3_N6thrust23THRUST_200600_302600_NS6detail15normal_iteratorINS9_10device_ptrIKfEEEENSB_INSC_IfEEEEfNS9_4plusIvEEfEEDaPvRmT3_T4_T5_mT6_P12ihipStream_tbENKUlT_T0_E_clISt17integral_constantIbLb0EESX_EEDaSS_ST_EUlSS_E_NS1_11comp_targetILNS1_3genE10ELNS1_11target_archE1200ELNS1_3gpuE4ELNS1_3repE0EEENS1_30default_config_static_selectorELNS0_4arch9wavefront6targetE1EEEvT1_.kd
    .uniform_work_group_size: 1
    .uses_dynamic_stack: false
    .vgpr_count:     0
    .vgpr_spill_count: 0
    .wavefront_size: 64
  - .agpr_count:     0
    .args:
      - .offset:         0
        .size:           96
        .value_kind:     by_value
    .group_segment_fixed_size: 0
    .kernarg_segment_align: 8
    .kernarg_segment_size: 96
    .language:       OpenCL C
    .language_version:
      - 2
      - 0
    .max_flat_workgroup_size: 256
    .name:           _ZN7rocprim17ROCPRIM_400000_NS6detail17trampoline_kernelINS0_14default_configENS1_20scan_config_selectorIfEEZZNS1_9scan_implILNS1_25lookback_scan_determinismE0ELb1ELb1ES3_N6thrust23THRUST_200600_302600_NS6detail15normal_iteratorINS9_10device_ptrIKfEEEENSB_INSC_IfEEEEfNS9_4plusIvEEfEEDaPvRmT3_T4_T5_mT6_P12ihipStream_tbENKUlT_T0_E_clISt17integral_constantIbLb0EESX_EEDaSS_ST_EUlSS_E_NS1_11comp_targetILNS1_3genE9ELNS1_11target_archE1100ELNS1_3gpuE3ELNS1_3repE0EEENS1_30default_config_static_selectorELNS0_4arch9wavefront6targetE1EEEvT1_
    .private_segment_fixed_size: 0
    .sgpr_count:     6
    .sgpr_spill_count: 0
    .symbol:         _ZN7rocprim17ROCPRIM_400000_NS6detail17trampoline_kernelINS0_14default_configENS1_20scan_config_selectorIfEEZZNS1_9scan_implILNS1_25lookback_scan_determinismE0ELb1ELb1ES3_N6thrust23THRUST_200600_302600_NS6detail15normal_iteratorINS9_10device_ptrIKfEEEENSB_INSC_IfEEEEfNS9_4plusIvEEfEEDaPvRmT3_T4_T5_mT6_P12ihipStream_tbENKUlT_T0_E_clISt17integral_constantIbLb0EESX_EEDaSS_ST_EUlSS_E_NS1_11comp_targetILNS1_3genE9ELNS1_11target_archE1100ELNS1_3gpuE3ELNS1_3repE0EEENS1_30default_config_static_selectorELNS0_4arch9wavefront6targetE1EEEvT1_.kd
    .uniform_work_group_size: 1
    .uses_dynamic_stack: false
    .vgpr_count:     0
    .vgpr_spill_count: 0
    .wavefront_size: 64
  - .agpr_count:     0
    .args:
      - .offset:         0
        .size:           96
        .value_kind:     by_value
    .group_segment_fixed_size: 0
    .kernarg_segment_align: 8
    .kernarg_segment_size: 96
    .language:       OpenCL C
    .language_version:
      - 2
      - 0
    .max_flat_workgroup_size: 64
    .name:           _ZN7rocprim17ROCPRIM_400000_NS6detail17trampoline_kernelINS0_14default_configENS1_20scan_config_selectorIfEEZZNS1_9scan_implILNS1_25lookback_scan_determinismE0ELb1ELb1ES3_N6thrust23THRUST_200600_302600_NS6detail15normal_iteratorINS9_10device_ptrIKfEEEENSB_INSC_IfEEEEfNS9_4plusIvEEfEEDaPvRmT3_T4_T5_mT6_P12ihipStream_tbENKUlT_T0_E_clISt17integral_constantIbLb0EESX_EEDaSS_ST_EUlSS_E_NS1_11comp_targetILNS1_3genE8ELNS1_11target_archE1030ELNS1_3gpuE2ELNS1_3repE0EEENS1_30default_config_static_selectorELNS0_4arch9wavefront6targetE1EEEvT1_
    .private_segment_fixed_size: 0
    .sgpr_count:     6
    .sgpr_spill_count: 0
    .symbol:         _ZN7rocprim17ROCPRIM_400000_NS6detail17trampoline_kernelINS0_14default_configENS1_20scan_config_selectorIfEEZZNS1_9scan_implILNS1_25lookback_scan_determinismE0ELb1ELb1ES3_N6thrust23THRUST_200600_302600_NS6detail15normal_iteratorINS9_10device_ptrIKfEEEENSB_INSC_IfEEEEfNS9_4plusIvEEfEEDaPvRmT3_T4_T5_mT6_P12ihipStream_tbENKUlT_T0_E_clISt17integral_constantIbLb0EESX_EEDaSS_ST_EUlSS_E_NS1_11comp_targetILNS1_3genE8ELNS1_11target_archE1030ELNS1_3gpuE2ELNS1_3repE0EEENS1_30default_config_static_selectorELNS0_4arch9wavefront6targetE1EEEvT1_.kd
    .uniform_work_group_size: 1
    .uses_dynamic_stack: false
    .vgpr_count:     0
    .vgpr_spill_count: 0
    .wavefront_size: 64
  - .agpr_count:     0
    .args:
      - .offset:         0
        .size:           40
        .value_kind:     by_value
    .group_segment_fixed_size: 0
    .kernarg_segment_align: 8
    .kernarg_segment_size: 40
    .language:       OpenCL C
    .language_version:
      - 2
      - 0
    .max_flat_workgroup_size: 128
    .name:           _ZN7rocprim17ROCPRIM_400000_NS6detail17trampoline_kernelINS0_14default_configENS1_25transform_config_selectorIfLb1EEEZNS1_14transform_implILb1ES3_S5_PfS7_NS0_8identityIfEEEE10hipError_tT2_T3_mT4_P12ihipStream_tbEUlT_E_NS1_11comp_targetILNS1_3genE0ELNS1_11target_archE4294967295ELNS1_3gpuE0ELNS1_3repE0EEENS1_30default_config_static_selectorELNS0_4arch9wavefront6targetE1EEEvT1_
    .private_segment_fixed_size: 0
    .sgpr_count:     6
    .sgpr_spill_count: 0
    .symbol:         _ZN7rocprim17ROCPRIM_400000_NS6detail17trampoline_kernelINS0_14default_configENS1_25transform_config_selectorIfLb1EEEZNS1_14transform_implILb1ES3_S5_PfS7_NS0_8identityIfEEEE10hipError_tT2_T3_mT4_P12ihipStream_tbEUlT_E_NS1_11comp_targetILNS1_3genE0ELNS1_11target_archE4294967295ELNS1_3gpuE0ELNS1_3repE0EEENS1_30default_config_static_selectorELNS0_4arch9wavefront6targetE1EEEvT1_.kd
    .uniform_work_group_size: 1
    .uses_dynamic_stack: false
    .vgpr_count:     0
    .vgpr_spill_count: 0
    .wavefront_size: 64
  - .agpr_count:     0
    .args:
      - .offset:         0
        .size:           40
        .value_kind:     by_value
    .group_segment_fixed_size: 0
    .kernarg_segment_align: 8
    .kernarg_segment_size: 40
    .language:       OpenCL C
    .language_version:
      - 2
      - 0
    .max_flat_workgroup_size: 1024
    .name:           _ZN7rocprim17ROCPRIM_400000_NS6detail17trampoline_kernelINS0_14default_configENS1_25transform_config_selectorIfLb1EEEZNS1_14transform_implILb1ES3_S5_PfS7_NS0_8identityIfEEEE10hipError_tT2_T3_mT4_P12ihipStream_tbEUlT_E_NS1_11comp_targetILNS1_3genE10ELNS1_11target_archE1201ELNS1_3gpuE5ELNS1_3repE0EEENS1_30default_config_static_selectorELNS0_4arch9wavefront6targetE1EEEvT1_
    .private_segment_fixed_size: 0
    .sgpr_count:     6
    .sgpr_spill_count: 0
    .symbol:         _ZN7rocprim17ROCPRIM_400000_NS6detail17trampoline_kernelINS0_14default_configENS1_25transform_config_selectorIfLb1EEEZNS1_14transform_implILb1ES3_S5_PfS7_NS0_8identityIfEEEE10hipError_tT2_T3_mT4_P12ihipStream_tbEUlT_E_NS1_11comp_targetILNS1_3genE10ELNS1_11target_archE1201ELNS1_3gpuE5ELNS1_3repE0EEENS1_30default_config_static_selectorELNS0_4arch9wavefront6targetE1EEEvT1_.kd
    .uniform_work_group_size: 1
    .uses_dynamic_stack: false
    .vgpr_count:     0
    .vgpr_spill_count: 0
    .wavefront_size: 64
  - .agpr_count:     0
    .args:
      - .offset:         0
        .size:           40
        .value_kind:     by_value
      - .offset:         40
        .size:           4
        .value_kind:     hidden_block_count_x
      - .offset:         44
        .size:           4
        .value_kind:     hidden_block_count_y
      - .offset:         48
        .size:           4
        .value_kind:     hidden_block_count_z
      - .offset:         52
        .size:           2
        .value_kind:     hidden_group_size_x
      - .offset:         54
        .size:           2
        .value_kind:     hidden_group_size_y
      - .offset:         56
        .size:           2
        .value_kind:     hidden_group_size_z
      - .offset:         58
        .size:           2
        .value_kind:     hidden_remainder_x
      - .offset:         60
        .size:           2
        .value_kind:     hidden_remainder_y
      - .offset:         62
        .size:           2
        .value_kind:     hidden_remainder_z
      - .offset:         80
        .size:           8
        .value_kind:     hidden_global_offset_x
      - .offset:         88
        .size:           8
        .value_kind:     hidden_global_offset_y
      - .offset:         96
        .size:           8
        .value_kind:     hidden_global_offset_z
      - .offset:         104
        .size:           2
        .value_kind:     hidden_grid_dims
    .group_segment_fixed_size: 0
    .kernarg_segment_align: 8
    .kernarg_segment_size: 296
    .language:       OpenCL C
    .language_version:
      - 2
      - 0
    .max_flat_workgroup_size: 256
    .name:           _ZN7rocprim17ROCPRIM_400000_NS6detail17trampoline_kernelINS0_14default_configENS1_25transform_config_selectorIfLb1EEEZNS1_14transform_implILb1ES3_S5_PfS7_NS0_8identityIfEEEE10hipError_tT2_T3_mT4_P12ihipStream_tbEUlT_E_NS1_11comp_targetILNS1_3genE5ELNS1_11target_archE942ELNS1_3gpuE9ELNS1_3repE0EEENS1_30default_config_static_selectorELNS0_4arch9wavefront6targetE1EEEvT1_
    .private_segment_fixed_size: 0
    .sgpr_count:     24
    .sgpr_spill_count: 0
    .symbol:         _ZN7rocprim17ROCPRIM_400000_NS6detail17trampoline_kernelINS0_14default_configENS1_25transform_config_selectorIfLb1EEEZNS1_14transform_implILb1ES3_S5_PfS7_NS0_8identityIfEEEE10hipError_tT2_T3_mT4_P12ihipStream_tbEUlT_E_NS1_11comp_targetILNS1_3genE5ELNS1_11target_archE942ELNS1_3gpuE9ELNS1_3repE0EEENS1_30default_config_static_selectorELNS0_4arch9wavefront6targetE1EEEvT1_.kd
    .uniform_work_group_size: 1
    .uses_dynamic_stack: false
    .vgpr_count:     7
    .vgpr_spill_count: 0
    .wavefront_size: 64
  - .agpr_count:     0
    .args:
      - .offset:         0
        .size:           40
        .value_kind:     by_value
    .group_segment_fixed_size: 0
    .kernarg_segment_align: 8
    .kernarg_segment_size: 40
    .language:       OpenCL C
    .language_version:
      - 2
      - 0
    .max_flat_workgroup_size: 1024
    .name:           _ZN7rocprim17ROCPRIM_400000_NS6detail17trampoline_kernelINS0_14default_configENS1_25transform_config_selectorIfLb1EEEZNS1_14transform_implILb1ES3_S5_PfS7_NS0_8identityIfEEEE10hipError_tT2_T3_mT4_P12ihipStream_tbEUlT_E_NS1_11comp_targetILNS1_3genE4ELNS1_11target_archE910ELNS1_3gpuE8ELNS1_3repE0EEENS1_30default_config_static_selectorELNS0_4arch9wavefront6targetE1EEEvT1_
    .private_segment_fixed_size: 0
    .sgpr_count:     6
    .sgpr_spill_count: 0
    .symbol:         _ZN7rocprim17ROCPRIM_400000_NS6detail17trampoline_kernelINS0_14default_configENS1_25transform_config_selectorIfLb1EEEZNS1_14transform_implILb1ES3_S5_PfS7_NS0_8identityIfEEEE10hipError_tT2_T3_mT4_P12ihipStream_tbEUlT_E_NS1_11comp_targetILNS1_3genE4ELNS1_11target_archE910ELNS1_3gpuE8ELNS1_3repE0EEENS1_30default_config_static_selectorELNS0_4arch9wavefront6targetE1EEEvT1_.kd
    .uniform_work_group_size: 1
    .uses_dynamic_stack: false
    .vgpr_count:     0
    .vgpr_spill_count: 0
    .wavefront_size: 64
  - .agpr_count:     0
    .args:
      - .offset:         0
        .size:           40
        .value_kind:     by_value
    .group_segment_fixed_size: 0
    .kernarg_segment_align: 8
    .kernarg_segment_size: 40
    .language:       OpenCL C
    .language_version:
      - 2
      - 0
    .max_flat_workgroup_size: 128
    .name:           _ZN7rocprim17ROCPRIM_400000_NS6detail17trampoline_kernelINS0_14default_configENS1_25transform_config_selectorIfLb1EEEZNS1_14transform_implILb1ES3_S5_PfS7_NS0_8identityIfEEEE10hipError_tT2_T3_mT4_P12ihipStream_tbEUlT_E_NS1_11comp_targetILNS1_3genE3ELNS1_11target_archE908ELNS1_3gpuE7ELNS1_3repE0EEENS1_30default_config_static_selectorELNS0_4arch9wavefront6targetE1EEEvT1_
    .private_segment_fixed_size: 0
    .sgpr_count:     6
    .sgpr_spill_count: 0
    .symbol:         _ZN7rocprim17ROCPRIM_400000_NS6detail17trampoline_kernelINS0_14default_configENS1_25transform_config_selectorIfLb1EEEZNS1_14transform_implILb1ES3_S5_PfS7_NS0_8identityIfEEEE10hipError_tT2_T3_mT4_P12ihipStream_tbEUlT_E_NS1_11comp_targetILNS1_3genE3ELNS1_11target_archE908ELNS1_3gpuE7ELNS1_3repE0EEENS1_30default_config_static_selectorELNS0_4arch9wavefront6targetE1EEEvT1_.kd
    .uniform_work_group_size: 1
    .uses_dynamic_stack: false
    .vgpr_count:     0
    .vgpr_spill_count: 0
    .wavefront_size: 64
  - .agpr_count:     0
    .args:
      - .offset:         0
        .size:           40
        .value_kind:     by_value
    .group_segment_fixed_size: 0
    .kernarg_segment_align: 8
    .kernarg_segment_size: 40
    .language:       OpenCL C
    .language_version:
      - 2
      - 0
    .max_flat_workgroup_size: 1024
    .name:           _ZN7rocprim17ROCPRIM_400000_NS6detail17trampoline_kernelINS0_14default_configENS1_25transform_config_selectorIfLb1EEEZNS1_14transform_implILb1ES3_S5_PfS7_NS0_8identityIfEEEE10hipError_tT2_T3_mT4_P12ihipStream_tbEUlT_E_NS1_11comp_targetILNS1_3genE2ELNS1_11target_archE906ELNS1_3gpuE6ELNS1_3repE0EEENS1_30default_config_static_selectorELNS0_4arch9wavefront6targetE1EEEvT1_
    .private_segment_fixed_size: 0
    .sgpr_count:     6
    .sgpr_spill_count: 0
    .symbol:         _ZN7rocprim17ROCPRIM_400000_NS6detail17trampoline_kernelINS0_14default_configENS1_25transform_config_selectorIfLb1EEEZNS1_14transform_implILb1ES3_S5_PfS7_NS0_8identityIfEEEE10hipError_tT2_T3_mT4_P12ihipStream_tbEUlT_E_NS1_11comp_targetILNS1_3genE2ELNS1_11target_archE906ELNS1_3gpuE6ELNS1_3repE0EEENS1_30default_config_static_selectorELNS0_4arch9wavefront6targetE1EEEvT1_.kd
    .uniform_work_group_size: 1
    .uses_dynamic_stack: false
    .vgpr_count:     0
    .vgpr_spill_count: 0
    .wavefront_size: 64
  - .agpr_count:     0
    .args:
      - .offset:         0
        .size:           40
        .value_kind:     by_value
    .group_segment_fixed_size: 0
    .kernarg_segment_align: 8
    .kernarg_segment_size: 40
    .language:       OpenCL C
    .language_version:
      - 2
      - 0
    .max_flat_workgroup_size: 1024
    .name:           _ZN7rocprim17ROCPRIM_400000_NS6detail17trampoline_kernelINS0_14default_configENS1_25transform_config_selectorIfLb1EEEZNS1_14transform_implILb1ES3_S5_PfS7_NS0_8identityIfEEEE10hipError_tT2_T3_mT4_P12ihipStream_tbEUlT_E_NS1_11comp_targetILNS1_3genE9ELNS1_11target_archE1100ELNS1_3gpuE3ELNS1_3repE0EEENS1_30default_config_static_selectorELNS0_4arch9wavefront6targetE1EEEvT1_
    .private_segment_fixed_size: 0
    .sgpr_count:     6
    .sgpr_spill_count: 0
    .symbol:         _ZN7rocprim17ROCPRIM_400000_NS6detail17trampoline_kernelINS0_14default_configENS1_25transform_config_selectorIfLb1EEEZNS1_14transform_implILb1ES3_S5_PfS7_NS0_8identityIfEEEE10hipError_tT2_T3_mT4_P12ihipStream_tbEUlT_E_NS1_11comp_targetILNS1_3genE9ELNS1_11target_archE1100ELNS1_3gpuE3ELNS1_3repE0EEENS1_30default_config_static_selectorELNS0_4arch9wavefront6targetE1EEEvT1_.kd
    .uniform_work_group_size: 1
    .uses_dynamic_stack: false
    .vgpr_count:     0
    .vgpr_spill_count: 0
    .wavefront_size: 64
  - .agpr_count:     0
    .args:
      - .offset:         0
        .size:           40
        .value_kind:     by_value
    .group_segment_fixed_size: 0
    .kernarg_segment_align: 8
    .kernarg_segment_size: 40
    .language:       OpenCL C
    .language_version:
      - 2
      - 0
    .max_flat_workgroup_size: 1024
    .name:           _ZN7rocprim17ROCPRIM_400000_NS6detail17trampoline_kernelINS0_14default_configENS1_25transform_config_selectorIfLb1EEEZNS1_14transform_implILb1ES3_S5_PfS7_NS0_8identityIfEEEE10hipError_tT2_T3_mT4_P12ihipStream_tbEUlT_E_NS1_11comp_targetILNS1_3genE8ELNS1_11target_archE1030ELNS1_3gpuE2ELNS1_3repE0EEENS1_30default_config_static_selectorELNS0_4arch9wavefront6targetE1EEEvT1_
    .private_segment_fixed_size: 0
    .sgpr_count:     6
    .sgpr_spill_count: 0
    .symbol:         _ZN7rocprim17ROCPRIM_400000_NS6detail17trampoline_kernelINS0_14default_configENS1_25transform_config_selectorIfLb1EEEZNS1_14transform_implILb1ES3_S5_PfS7_NS0_8identityIfEEEE10hipError_tT2_T3_mT4_P12ihipStream_tbEUlT_E_NS1_11comp_targetILNS1_3genE8ELNS1_11target_archE1030ELNS1_3gpuE2ELNS1_3repE0EEENS1_30default_config_static_selectorELNS0_4arch9wavefront6targetE1EEEvT1_.kd
    .uniform_work_group_size: 1
    .uses_dynamic_stack: false
    .vgpr_count:     0
    .vgpr_spill_count: 0
    .wavefront_size: 64
  - .agpr_count:     0
    .args:
      - .offset:         0
        .size:           32
        .value_kind:     by_value
    .group_segment_fixed_size: 0
    .kernarg_segment_align: 8
    .kernarg_segment_size: 32
    .language:       OpenCL C
    .language_version:
      - 2
      - 0
    .max_flat_workgroup_size: 256
    .name:           _ZN7rocprim17ROCPRIM_400000_NS6detail17trampoline_kernelINS0_14default_configENS1_20scan_config_selectorIfEEZZNS1_9scan_implILNS1_25lookback_scan_determinismE0ELb1ELb1ES3_N6thrust23THRUST_200600_302600_NS6detail15normal_iteratorINS9_10device_ptrIKfEEEENSB_INSC_IfEEEEfNS9_4plusIvEEfEEDaPvRmT3_T4_T5_mT6_P12ihipStream_tbENKUlT_T0_E_clISt17integral_constantIbLb0EESX_EEDaSS_ST_EUlSS_E0_NS1_11comp_targetILNS1_3genE0ELNS1_11target_archE4294967295ELNS1_3gpuE0ELNS1_3repE0EEENS1_30default_config_static_selectorELNS0_4arch9wavefront6targetE1EEEvT1_
    .private_segment_fixed_size: 0
    .sgpr_count:     6
    .sgpr_spill_count: 0
    .symbol:         _ZN7rocprim17ROCPRIM_400000_NS6detail17trampoline_kernelINS0_14default_configENS1_20scan_config_selectorIfEEZZNS1_9scan_implILNS1_25lookback_scan_determinismE0ELb1ELb1ES3_N6thrust23THRUST_200600_302600_NS6detail15normal_iteratorINS9_10device_ptrIKfEEEENSB_INSC_IfEEEEfNS9_4plusIvEEfEEDaPvRmT3_T4_T5_mT6_P12ihipStream_tbENKUlT_T0_E_clISt17integral_constantIbLb0EESX_EEDaSS_ST_EUlSS_E0_NS1_11comp_targetILNS1_3genE0ELNS1_11target_archE4294967295ELNS1_3gpuE0ELNS1_3repE0EEENS1_30default_config_static_selectorELNS0_4arch9wavefront6targetE1EEEvT1_.kd
    .uniform_work_group_size: 1
    .uses_dynamic_stack: false
    .vgpr_count:     0
    .vgpr_spill_count: 0
    .wavefront_size: 64
  - .agpr_count:     0
    .args:
      - .offset:         0
        .size:           32
        .value_kind:     by_value
    .group_segment_fixed_size: 24576
    .kernarg_segment_align: 8
    .kernarg_segment_size: 32
    .language:       OpenCL C
    .language_version:
      - 2
      - 0
    .max_flat_workgroup_size: 256
    .name:           _ZN7rocprim17ROCPRIM_400000_NS6detail17trampoline_kernelINS0_14default_configENS1_20scan_config_selectorIfEEZZNS1_9scan_implILNS1_25lookback_scan_determinismE0ELb1ELb1ES3_N6thrust23THRUST_200600_302600_NS6detail15normal_iteratorINS9_10device_ptrIKfEEEENSB_INSC_IfEEEEfNS9_4plusIvEEfEEDaPvRmT3_T4_T5_mT6_P12ihipStream_tbENKUlT_T0_E_clISt17integral_constantIbLb0EESX_EEDaSS_ST_EUlSS_E0_NS1_11comp_targetILNS1_3genE5ELNS1_11target_archE942ELNS1_3gpuE9ELNS1_3repE0EEENS1_30default_config_static_selectorELNS0_4arch9wavefront6targetE1EEEvT1_
    .private_segment_fixed_size: 0
    .sgpr_count:     65
    .sgpr_spill_count: 0
    .symbol:         _ZN7rocprim17ROCPRIM_400000_NS6detail17trampoline_kernelINS0_14default_configENS1_20scan_config_selectorIfEEZZNS1_9scan_implILNS1_25lookback_scan_determinismE0ELb1ELb1ES3_N6thrust23THRUST_200600_302600_NS6detail15normal_iteratorINS9_10device_ptrIKfEEEENSB_INSC_IfEEEEfNS9_4plusIvEEfEEDaPvRmT3_T4_T5_mT6_P12ihipStream_tbENKUlT_T0_E_clISt17integral_constantIbLb0EESX_EEDaSS_ST_EUlSS_E0_NS1_11comp_targetILNS1_3genE5ELNS1_11target_archE942ELNS1_3gpuE9ELNS1_3repE0EEENS1_30default_config_static_selectorELNS0_4arch9wavefront6targetE1EEEvT1_.kd
    .uniform_work_group_size: 1
    .uses_dynamic_stack: false
    .vgpr_count:     34
    .vgpr_spill_count: 0
    .wavefront_size: 64
  - .agpr_count:     0
    .args:
      - .offset:         0
        .size:           32
        .value_kind:     by_value
    .group_segment_fixed_size: 0
    .kernarg_segment_align: 8
    .kernarg_segment_size: 32
    .language:       OpenCL C
    .language_version:
      - 2
      - 0
    .max_flat_workgroup_size: 128
    .name:           _ZN7rocprim17ROCPRIM_400000_NS6detail17trampoline_kernelINS0_14default_configENS1_20scan_config_selectorIfEEZZNS1_9scan_implILNS1_25lookback_scan_determinismE0ELb1ELb1ES3_N6thrust23THRUST_200600_302600_NS6detail15normal_iteratorINS9_10device_ptrIKfEEEENSB_INSC_IfEEEEfNS9_4plusIvEEfEEDaPvRmT3_T4_T5_mT6_P12ihipStream_tbENKUlT_T0_E_clISt17integral_constantIbLb0EESX_EEDaSS_ST_EUlSS_E0_NS1_11comp_targetILNS1_3genE4ELNS1_11target_archE910ELNS1_3gpuE8ELNS1_3repE0EEENS1_30default_config_static_selectorELNS0_4arch9wavefront6targetE1EEEvT1_
    .private_segment_fixed_size: 0
    .sgpr_count:     6
    .sgpr_spill_count: 0
    .symbol:         _ZN7rocprim17ROCPRIM_400000_NS6detail17trampoline_kernelINS0_14default_configENS1_20scan_config_selectorIfEEZZNS1_9scan_implILNS1_25lookback_scan_determinismE0ELb1ELb1ES3_N6thrust23THRUST_200600_302600_NS6detail15normal_iteratorINS9_10device_ptrIKfEEEENSB_INSC_IfEEEEfNS9_4plusIvEEfEEDaPvRmT3_T4_T5_mT6_P12ihipStream_tbENKUlT_T0_E_clISt17integral_constantIbLb0EESX_EEDaSS_ST_EUlSS_E0_NS1_11comp_targetILNS1_3genE4ELNS1_11target_archE910ELNS1_3gpuE8ELNS1_3repE0EEENS1_30default_config_static_selectorELNS0_4arch9wavefront6targetE1EEEvT1_.kd
    .uniform_work_group_size: 1
    .uses_dynamic_stack: false
    .vgpr_count:     0
    .vgpr_spill_count: 0
    .wavefront_size: 64
  - .agpr_count:     0
    .args:
      - .offset:         0
        .size:           32
        .value_kind:     by_value
    .group_segment_fixed_size: 0
    .kernarg_segment_align: 8
    .kernarg_segment_size: 32
    .language:       OpenCL C
    .language_version:
      - 2
      - 0
    .max_flat_workgroup_size: 256
    .name:           _ZN7rocprim17ROCPRIM_400000_NS6detail17trampoline_kernelINS0_14default_configENS1_20scan_config_selectorIfEEZZNS1_9scan_implILNS1_25lookback_scan_determinismE0ELb1ELb1ES3_N6thrust23THRUST_200600_302600_NS6detail15normal_iteratorINS9_10device_ptrIKfEEEENSB_INSC_IfEEEEfNS9_4plusIvEEfEEDaPvRmT3_T4_T5_mT6_P12ihipStream_tbENKUlT_T0_E_clISt17integral_constantIbLb0EESX_EEDaSS_ST_EUlSS_E0_NS1_11comp_targetILNS1_3genE3ELNS1_11target_archE908ELNS1_3gpuE7ELNS1_3repE0EEENS1_30default_config_static_selectorELNS0_4arch9wavefront6targetE1EEEvT1_
    .private_segment_fixed_size: 0
    .sgpr_count:     6
    .sgpr_spill_count: 0
    .symbol:         _ZN7rocprim17ROCPRIM_400000_NS6detail17trampoline_kernelINS0_14default_configENS1_20scan_config_selectorIfEEZZNS1_9scan_implILNS1_25lookback_scan_determinismE0ELb1ELb1ES3_N6thrust23THRUST_200600_302600_NS6detail15normal_iteratorINS9_10device_ptrIKfEEEENSB_INSC_IfEEEEfNS9_4plusIvEEfEEDaPvRmT3_T4_T5_mT6_P12ihipStream_tbENKUlT_T0_E_clISt17integral_constantIbLb0EESX_EEDaSS_ST_EUlSS_E0_NS1_11comp_targetILNS1_3genE3ELNS1_11target_archE908ELNS1_3gpuE7ELNS1_3repE0EEENS1_30default_config_static_selectorELNS0_4arch9wavefront6targetE1EEEvT1_.kd
    .uniform_work_group_size: 1
    .uses_dynamic_stack: false
    .vgpr_count:     0
    .vgpr_spill_count: 0
    .wavefront_size: 64
  - .agpr_count:     0
    .args:
      - .offset:         0
        .size:           32
        .value_kind:     by_value
    .group_segment_fixed_size: 0
    .kernarg_segment_align: 8
    .kernarg_segment_size: 32
    .language:       OpenCL C
    .language_version:
      - 2
      - 0
    .max_flat_workgroup_size: 256
    .name:           _ZN7rocprim17ROCPRIM_400000_NS6detail17trampoline_kernelINS0_14default_configENS1_20scan_config_selectorIfEEZZNS1_9scan_implILNS1_25lookback_scan_determinismE0ELb1ELb1ES3_N6thrust23THRUST_200600_302600_NS6detail15normal_iteratorINS9_10device_ptrIKfEEEENSB_INSC_IfEEEEfNS9_4plusIvEEfEEDaPvRmT3_T4_T5_mT6_P12ihipStream_tbENKUlT_T0_E_clISt17integral_constantIbLb0EESX_EEDaSS_ST_EUlSS_E0_NS1_11comp_targetILNS1_3genE2ELNS1_11target_archE906ELNS1_3gpuE6ELNS1_3repE0EEENS1_30default_config_static_selectorELNS0_4arch9wavefront6targetE1EEEvT1_
    .private_segment_fixed_size: 0
    .sgpr_count:     6
    .sgpr_spill_count: 0
    .symbol:         _ZN7rocprim17ROCPRIM_400000_NS6detail17trampoline_kernelINS0_14default_configENS1_20scan_config_selectorIfEEZZNS1_9scan_implILNS1_25lookback_scan_determinismE0ELb1ELb1ES3_N6thrust23THRUST_200600_302600_NS6detail15normal_iteratorINS9_10device_ptrIKfEEEENSB_INSC_IfEEEEfNS9_4plusIvEEfEEDaPvRmT3_T4_T5_mT6_P12ihipStream_tbENKUlT_T0_E_clISt17integral_constantIbLb0EESX_EEDaSS_ST_EUlSS_E0_NS1_11comp_targetILNS1_3genE2ELNS1_11target_archE906ELNS1_3gpuE6ELNS1_3repE0EEENS1_30default_config_static_selectorELNS0_4arch9wavefront6targetE1EEEvT1_.kd
    .uniform_work_group_size: 1
    .uses_dynamic_stack: false
    .vgpr_count:     0
    .vgpr_spill_count: 0
    .wavefront_size: 64
  - .agpr_count:     0
    .args:
      - .offset:         0
        .size:           32
        .value_kind:     by_value
    .group_segment_fixed_size: 0
    .kernarg_segment_align: 8
    .kernarg_segment_size: 32
    .language:       OpenCL C
    .language_version:
      - 2
      - 0
    .max_flat_workgroup_size: 256
    .name:           _ZN7rocprim17ROCPRIM_400000_NS6detail17trampoline_kernelINS0_14default_configENS1_20scan_config_selectorIfEEZZNS1_9scan_implILNS1_25lookback_scan_determinismE0ELb1ELb1ES3_N6thrust23THRUST_200600_302600_NS6detail15normal_iteratorINS9_10device_ptrIKfEEEENSB_INSC_IfEEEEfNS9_4plusIvEEfEEDaPvRmT3_T4_T5_mT6_P12ihipStream_tbENKUlT_T0_E_clISt17integral_constantIbLb0EESX_EEDaSS_ST_EUlSS_E0_NS1_11comp_targetILNS1_3genE10ELNS1_11target_archE1201ELNS1_3gpuE5ELNS1_3repE0EEENS1_30default_config_static_selectorELNS0_4arch9wavefront6targetE1EEEvT1_
    .private_segment_fixed_size: 0
    .sgpr_count:     6
    .sgpr_spill_count: 0
    .symbol:         _ZN7rocprim17ROCPRIM_400000_NS6detail17trampoline_kernelINS0_14default_configENS1_20scan_config_selectorIfEEZZNS1_9scan_implILNS1_25lookback_scan_determinismE0ELb1ELb1ES3_N6thrust23THRUST_200600_302600_NS6detail15normal_iteratorINS9_10device_ptrIKfEEEENSB_INSC_IfEEEEfNS9_4plusIvEEfEEDaPvRmT3_T4_T5_mT6_P12ihipStream_tbENKUlT_T0_E_clISt17integral_constantIbLb0EESX_EEDaSS_ST_EUlSS_E0_NS1_11comp_targetILNS1_3genE10ELNS1_11target_archE1201ELNS1_3gpuE5ELNS1_3repE0EEENS1_30default_config_static_selectorELNS0_4arch9wavefront6targetE1EEEvT1_.kd
    .uniform_work_group_size: 1
    .uses_dynamic_stack: false
    .vgpr_count:     0
    .vgpr_spill_count: 0
    .wavefront_size: 64
  - .agpr_count:     0
    .args:
      - .offset:         0
        .size:           32
        .value_kind:     by_value
    .group_segment_fixed_size: 0
    .kernarg_segment_align: 8
    .kernarg_segment_size: 32
    .language:       OpenCL C
    .language_version:
      - 2
      - 0
    .max_flat_workgroup_size: 256
    .name:           _ZN7rocprim17ROCPRIM_400000_NS6detail17trampoline_kernelINS0_14default_configENS1_20scan_config_selectorIfEEZZNS1_9scan_implILNS1_25lookback_scan_determinismE0ELb1ELb1ES3_N6thrust23THRUST_200600_302600_NS6detail15normal_iteratorINS9_10device_ptrIKfEEEENSB_INSC_IfEEEEfNS9_4plusIvEEfEEDaPvRmT3_T4_T5_mT6_P12ihipStream_tbENKUlT_T0_E_clISt17integral_constantIbLb0EESX_EEDaSS_ST_EUlSS_E0_NS1_11comp_targetILNS1_3genE10ELNS1_11target_archE1200ELNS1_3gpuE4ELNS1_3repE0EEENS1_30default_config_static_selectorELNS0_4arch9wavefront6targetE1EEEvT1_
    .private_segment_fixed_size: 0
    .sgpr_count:     6
    .sgpr_spill_count: 0
    .symbol:         _ZN7rocprim17ROCPRIM_400000_NS6detail17trampoline_kernelINS0_14default_configENS1_20scan_config_selectorIfEEZZNS1_9scan_implILNS1_25lookback_scan_determinismE0ELb1ELb1ES3_N6thrust23THRUST_200600_302600_NS6detail15normal_iteratorINS9_10device_ptrIKfEEEENSB_INSC_IfEEEEfNS9_4plusIvEEfEEDaPvRmT3_T4_T5_mT6_P12ihipStream_tbENKUlT_T0_E_clISt17integral_constantIbLb0EESX_EEDaSS_ST_EUlSS_E0_NS1_11comp_targetILNS1_3genE10ELNS1_11target_archE1200ELNS1_3gpuE4ELNS1_3repE0EEENS1_30default_config_static_selectorELNS0_4arch9wavefront6targetE1EEEvT1_.kd
    .uniform_work_group_size: 1
    .uses_dynamic_stack: false
    .vgpr_count:     0
    .vgpr_spill_count: 0
    .wavefront_size: 64
  - .agpr_count:     0
    .args:
      - .offset:         0
        .size:           32
        .value_kind:     by_value
    .group_segment_fixed_size: 0
    .kernarg_segment_align: 8
    .kernarg_segment_size: 32
    .language:       OpenCL C
    .language_version:
      - 2
      - 0
    .max_flat_workgroup_size: 256
    .name:           _ZN7rocprim17ROCPRIM_400000_NS6detail17trampoline_kernelINS0_14default_configENS1_20scan_config_selectorIfEEZZNS1_9scan_implILNS1_25lookback_scan_determinismE0ELb1ELb1ES3_N6thrust23THRUST_200600_302600_NS6detail15normal_iteratorINS9_10device_ptrIKfEEEENSB_INSC_IfEEEEfNS9_4plusIvEEfEEDaPvRmT3_T4_T5_mT6_P12ihipStream_tbENKUlT_T0_E_clISt17integral_constantIbLb0EESX_EEDaSS_ST_EUlSS_E0_NS1_11comp_targetILNS1_3genE9ELNS1_11target_archE1100ELNS1_3gpuE3ELNS1_3repE0EEENS1_30default_config_static_selectorELNS0_4arch9wavefront6targetE1EEEvT1_
    .private_segment_fixed_size: 0
    .sgpr_count:     6
    .sgpr_spill_count: 0
    .symbol:         _ZN7rocprim17ROCPRIM_400000_NS6detail17trampoline_kernelINS0_14default_configENS1_20scan_config_selectorIfEEZZNS1_9scan_implILNS1_25lookback_scan_determinismE0ELb1ELb1ES3_N6thrust23THRUST_200600_302600_NS6detail15normal_iteratorINS9_10device_ptrIKfEEEENSB_INSC_IfEEEEfNS9_4plusIvEEfEEDaPvRmT3_T4_T5_mT6_P12ihipStream_tbENKUlT_T0_E_clISt17integral_constantIbLb0EESX_EEDaSS_ST_EUlSS_E0_NS1_11comp_targetILNS1_3genE9ELNS1_11target_archE1100ELNS1_3gpuE3ELNS1_3repE0EEENS1_30default_config_static_selectorELNS0_4arch9wavefront6targetE1EEEvT1_.kd
    .uniform_work_group_size: 1
    .uses_dynamic_stack: false
    .vgpr_count:     0
    .vgpr_spill_count: 0
    .wavefront_size: 64
  - .agpr_count:     0
    .args:
      - .offset:         0
        .size:           32
        .value_kind:     by_value
    .group_segment_fixed_size: 0
    .kernarg_segment_align: 8
    .kernarg_segment_size: 32
    .language:       OpenCL C
    .language_version:
      - 2
      - 0
    .max_flat_workgroup_size: 64
    .name:           _ZN7rocprim17ROCPRIM_400000_NS6detail17trampoline_kernelINS0_14default_configENS1_20scan_config_selectorIfEEZZNS1_9scan_implILNS1_25lookback_scan_determinismE0ELb1ELb1ES3_N6thrust23THRUST_200600_302600_NS6detail15normal_iteratorINS9_10device_ptrIKfEEEENSB_INSC_IfEEEEfNS9_4plusIvEEfEEDaPvRmT3_T4_T5_mT6_P12ihipStream_tbENKUlT_T0_E_clISt17integral_constantIbLb0EESX_EEDaSS_ST_EUlSS_E0_NS1_11comp_targetILNS1_3genE8ELNS1_11target_archE1030ELNS1_3gpuE2ELNS1_3repE0EEENS1_30default_config_static_selectorELNS0_4arch9wavefront6targetE1EEEvT1_
    .private_segment_fixed_size: 0
    .sgpr_count:     6
    .sgpr_spill_count: 0
    .symbol:         _ZN7rocprim17ROCPRIM_400000_NS6detail17trampoline_kernelINS0_14default_configENS1_20scan_config_selectorIfEEZZNS1_9scan_implILNS1_25lookback_scan_determinismE0ELb1ELb1ES3_N6thrust23THRUST_200600_302600_NS6detail15normal_iteratorINS9_10device_ptrIKfEEEENSB_INSC_IfEEEEfNS9_4plusIvEEfEEDaPvRmT3_T4_T5_mT6_P12ihipStream_tbENKUlT_T0_E_clISt17integral_constantIbLb0EESX_EEDaSS_ST_EUlSS_E0_NS1_11comp_targetILNS1_3genE8ELNS1_11target_archE1030ELNS1_3gpuE2ELNS1_3repE0EEENS1_30default_config_static_selectorELNS0_4arch9wavefront6targetE1EEEvT1_.kd
    .uniform_work_group_size: 1
    .uses_dynamic_stack: false
    .vgpr_count:     0
    .vgpr_spill_count: 0
    .wavefront_size: 64
  - .agpr_count:     0
    .args:
      - .address_space:  global
        .offset:         0
        .size:           8
        .value_kind:     global_buffer
      - .offset:         8
        .size:           4
        .value_kind:     by_value
      - .address_space:  global
        .offset:         16
        .size:           8
        .value_kind:     global_buffer
      - .offset:         24
        .size:           4
        .value_kind:     by_value
      - .address_space:  global
        .offset:         32
        .size:           8
        .value_kind:     global_buffer
      - .offset:         40
        .size:           4
        .value_kind:     hidden_block_count_x
      - .offset:         44
        .size:           4
        .value_kind:     hidden_block_count_y
      - .offset:         48
        .size:           4
        .value_kind:     hidden_block_count_z
      - .offset:         52
        .size:           2
        .value_kind:     hidden_group_size_x
      - .offset:         54
        .size:           2
        .value_kind:     hidden_group_size_y
      - .offset:         56
        .size:           2
        .value_kind:     hidden_group_size_z
      - .offset:         58
        .size:           2
        .value_kind:     hidden_remainder_x
      - .offset:         60
        .size:           2
        .value_kind:     hidden_remainder_y
      - .offset:         62
        .size:           2
        .value_kind:     hidden_remainder_z
      - .offset:         80
        .size:           8
        .value_kind:     hidden_global_offset_x
      - .offset:         88
        .size:           8
        .value_kind:     hidden_global_offset_y
      - .offset:         96
        .size:           8
        .value_kind:     hidden_global_offset_z
      - .offset:         104
        .size:           2
        .value_kind:     hidden_grid_dims
    .group_segment_fixed_size: 0
    .kernarg_segment_align: 8
    .kernarg_segment_size: 296
    .language:       OpenCL C
    .language_version:
      - 2
      - 0
    .max_flat_workgroup_size: 256
    .name:           _ZN7rocprim17ROCPRIM_400000_NS6detail31init_lookback_scan_state_kernelINS1_19lookback_scan_stateIfLb1ELb1EEENS1_16block_id_wrapperIjLb1EEEEEvT_jT0_jPNS7_10value_typeE
    .private_segment_fixed_size: 0
    .sgpr_count:     20
    .sgpr_spill_count: 0
    .symbol:         _ZN7rocprim17ROCPRIM_400000_NS6detail31init_lookback_scan_state_kernelINS1_19lookback_scan_stateIfLb1ELb1EEENS1_16block_id_wrapperIjLb1EEEEEvT_jT0_jPNS7_10value_typeE.kd
    .uniform_work_group_size: 1
    .uses_dynamic_stack: false
    .vgpr_count:     6
    .vgpr_spill_count: 0
    .wavefront_size: 64
  - .agpr_count:     0
    .args:
      - .offset:         0
        .size:           96
        .value_kind:     by_value
    .group_segment_fixed_size: 0
    .kernarg_segment_align: 8
    .kernarg_segment_size: 96
    .language:       OpenCL C
    .language_version:
      - 2
      - 0
    .max_flat_workgroup_size: 256
    .name:           _ZN7rocprim17ROCPRIM_400000_NS6detail17trampoline_kernelINS0_14default_configENS1_20scan_config_selectorIfEEZZNS1_9scan_implILNS1_25lookback_scan_determinismE0ELb1ELb1ES3_N6thrust23THRUST_200600_302600_NS6detail15normal_iteratorINS9_10device_ptrIKfEEEENSB_INSC_IfEEEEfNS9_4plusIvEEfEEDaPvRmT3_T4_T5_mT6_P12ihipStream_tbENKUlT_T0_E_clISt17integral_constantIbLb1EESX_EEDaSS_ST_EUlSS_E_NS1_11comp_targetILNS1_3genE0ELNS1_11target_archE4294967295ELNS1_3gpuE0ELNS1_3repE0EEENS1_30default_config_static_selectorELNS0_4arch9wavefront6targetE1EEEvT1_
    .private_segment_fixed_size: 0
    .sgpr_count:     6
    .sgpr_spill_count: 0
    .symbol:         _ZN7rocprim17ROCPRIM_400000_NS6detail17trampoline_kernelINS0_14default_configENS1_20scan_config_selectorIfEEZZNS1_9scan_implILNS1_25lookback_scan_determinismE0ELb1ELb1ES3_N6thrust23THRUST_200600_302600_NS6detail15normal_iteratorINS9_10device_ptrIKfEEEENSB_INSC_IfEEEEfNS9_4plusIvEEfEEDaPvRmT3_T4_T5_mT6_P12ihipStream_tbENKUlT_T0_E_clISt17integral_constantIbLb1EESX_EEDaSS_ST_EUlSS_E_NS1_11comp_targetILNS1_3genE0ELNS1_11target_archE4294967295ELNS1_3gpuE0ELNS1_3repE0EEENS1_30default_config_static_selectorELNS0_4arch9wavefront6targetE1EEEvT1_.kd
    .uniform_work_group_size: 1
    .uses_dynamic_stack: false
    .vgpr_count:     0
    .vgpr_spill_count: 0
    .wavefront_size: 64
  - .agpr_count:     0
    .args:
      - .offset:         0
        .size:           96
        .value_kind:     by_value
    .group_segment_fixed_size: 24576
    .kernarg_segment_align: 8
    .kernarg_segment_size: 96
    .language:       OpenCL C
    .language_version:
      - 2
      - 0
    .max_flat_workgroup_size: 256
    .name:           _ZN7rocprim17ROCPRIM_400000_NS6detail17trampoline_kernelINS0_14default_configENS1_20scan_config_selectorIfEEZZNS1_9scan_implILNS1_25lookback_scan_determinismE0ELb1ELb1ES3_N6thrust23THRUST_200600_302600_NS6detail15normal_iteratorINS9_10device_ptrIKfEEEENSB_INSC_IfEEEEfNS9_4plusIvEEfEEDaPvRmT3_T4_T5_mT6_P12ihipStream_tbENKUlT_T0_E_clISt17integral_constantIbLb1EESX_EEDaSS_ST_EUlSS_E_NS1_11comp_targetILNS1_3genE5ELNS1_11target_archE942ELNS1_3gpuE9ELNS1_3repE0EEENS1_30default_config_static_selectorELNS0_4arch9wavefront6targetE1EEEvT1_
    .private_segment_fixed_size: 0
    .sgpr_count:     47
    .sgpr_spill_count: 0
    .symbol:         _ZN7rocprim17ROCPRIM_400000_NS6detail17trampoline_kernelINS0_14default_configENS1_20scan_config_selectorIfEEZZNS1_9scan_implILNS1_25lookback_scan_determinismE0ELb1ELb1ES3_N6thrust23THRUST_200600_302600_NS6detail15normal_iteratorINS9_10device_ptrIKfEEEENSB_INSC_IfEEEEfNS9_4plusIvEEfEEDaPvRmT3_T4_T5_mT6_P12ihipStream_tbENKUlT_T0_E_clISt17integral_constantIbLb1EESX_EEDaSS_ST_EUlSS_E_NS1_11comp_targetILNS1_3genE5ELNS1_11target_archE942ELNS1_3gpuE9ELNS1_3repE0EEENS1_30default_config_static_selectorELNS0_4arch9wavefront6targetE1EEEvT1_.kd
    .uniform_work_group_size: 1
    .uses_dynamic_stack: false
    .vgpr_count:     59
    .vgpr_spill_count: 0
    .wavefront_size: 64
  - .agpr_count:     0
    .args:
      - .offset:         0
        .size:           96
        .value_kind:     by_value
    .group_segment_fixed_size: 0
    .kernarg_segment_align: 8
    .kernarg_segment_size: 96
    .language:       OpenCL C
    .language_version:
      - 2
      - 0
    .max_flat_workgroup_size: 128
    .name:           _ZN7rocprim17ROCPRIM_400000_NS6detail17trampoline_kernelINS0_14default_configENS1_20scan_config_selectorIfEEZZNS1_9scan_implILNS1_25lookback_scan_determinismE0ELb1ELb1ES3_N6thrust23THRUST_200600_302600_NS6detail15normal_iteratorINS9_10device_ptrIKfEEEENSB_INSC_IfEEEEfNS9_4plusIvEEfEEDaPvRmT3_T4_T5_mT6_P12ihipStream_tbENKUlT_T0_E_clISt17integral_constantIbLb1EESX_EEDaSS_ST_EUlSS_E_NS1_11comp_targetILNS1_3genE4ELNS1_11target_archE910ELNS1_3gpuE8ELNS1_3repE0EEENS1_30default_config_static_selectorELNS0_4arch9wavefront6targetE1EEEvT1_
    .private_segment_fixed_size: 0
    .sgpr_count:     6
    .sgpr_spill_count: 0
    .symbol:         _ZN7rocprim17ROCPRIM_400000_NS6detail17trampoline_kernelINS0_14default_configENS1_20scan_config_selectorIfEEZZNS1_9scan_implILNS1_25lookback_scan_determinismE0ELb1ELb1ES3_N6thrust23THRUST_200600_302600_NS6detail15normal_iteratorINS9_10device_ptrIKfEEEENSB_INSC_IfEEEEfNS9_4plusIvEEfEEDaPvRmT3_T4_T5_mT6_P12ihipStream_tbENKUlT_T0_E_clISt17integral_constantIbLb1EESX_EEDaSS_ST_EUlSS_E_NS1_11comp_targetILNS1_3genE4ELNS1_11target_archE910ELNS1_3gpuE8ELNS1_3repE0EEENS1_30default_config_static_selectorELNS0_4arch9wavefront6targetE1EEEvT1_.kd
    .uniform_work_group_size: 1
    .uses_dynamic_stack: false
    .vgpr_count:     0
    .vgpr_spill_count: 0
    .wavefront_size: 64
  - .agpr_count:     0
    .args:
      - .offset:         0
        .size:           96
        .value_kind:     by_value
    .group_segment_fixed_size: 0
    .kernarg_segment_align: 8
    .kernarg_segment_size: 96
    .language:       OpenCL C
    .language_version:
      - 2
      - 0
    .max_flat_workgroup_size: 256
    .name:           _ZN7rocprim17ROCPRIM_400000_NS6detail17trampoline_kernelINS0_14default_configENS1_20scan_config_selectorIfEEZZNS1_9scan_implILNS1_25lookback_scan_determinismE0ELb1ELb1ES3_N6thrust23THRUST_200600_302600_NS6detail15normal_iteratorINS9_10device_ptrIKfEEEENSB_INSC_IfEEEEfNS9_4plusIvEEfEEDaPvRmT3_T4_T5_mT6_P12ihipStream_tbENKUlT_T0_E_clISt17integral_constantIbLb1EESX_EEDaSS_ST_EUlSS_E_NS1_11comp_targetILNS1_3genE3ELNS1_11target_archE908ELNS1_3gpuE7ELNS1_3repE0EEENS1_30default_config_static_selectorELNS0_4arch9wavefront6targetE1EEEvT1_
    .private_segment_fixed_size: 0
    .sgpr_count:     6
    .sgpr_spill_count: 0
    .symbol:         _ZN7rocprim17ROCPRIM_400000_NS6detail17trampoline_kernelINS0_14default_configENS1_20scan_config_selectorIfEEZZNS1_9scan_implILNS1_25lookback_scan_determinismE0ELb1ELb1ES3_N6thrust23THRUST_200600_302600_NS6detail15normal_iteratorINS9_10device_ptrIKfEEEENSB_INSC_IfEEEEfNS9_4plusIvEEfEEDaPvRmT3_T4_T5_mT6_P12ihipStream_tbENKUlT_T0_E_clISt17integral_constantIbLb1EESX_EEDaSS_ST_EUlSS_E_NS1_11comp_targetILNS1_3genE3ELNS1_11target_archE908ELNS1_3gpuE7ELNS1_3repE0EEENS1_30default_config_static_selectorELNS0_4arch9wavefront6targetE1EEEvT1_.kd
    .uniform_work_group_size: 1
    .uses_dynamic_stack: false
    .vgpr_count:     0
    .vgpr_spill_count: 0
    .wavefront_size: 64
  - .agpr_count:     0
    .args:
      - .offset:         0
        .size:           96
        .value_kind:     by_value
    .group_segment_fixed_size: 0
    .kernarg_segment_align: 8
    .kernarg_segment_size: 96
    .language:       OpenCL C
    .language_version:
      - 2
      - 0
    .max_flat_workgroup_size: 256
    .name:           _ZN7rocprim17ROCPRIM_400000_NS6detail17trampoline_kernelINS0_14default_configENS1_20scan_config_selectorIfEEZZNS1_9scan_implILNS1_25lookback_scan_determinismE0ELb1ELb1ES3_N6thrust23THRUST_200600_302600_NS6detail15normal_iteratorINS9_10device_ptrIKfEEEENSB_INSC_IfEEEEfNS9_4plusIvEEfEEDaPvRmT3_T4_T5_mT6_P12ihipStream_tbENKUlT_T0_E_clISt17integral_constantIbLb1EESX_EEDaSS_ST_EUlSS_E_NS1_11comp_targetILNS1_3genE2ELNS1_11target_archE906ELNS1_3gpuE6ELNS1_3repE0EEENS1_30default_config_static_selectorELNS0_4arch9wavefront6targetE1EEEvT1_
    .private_segment_fixed_size: 0
    .sgpr_count:     6
    .sgpr_spill_count: 0
    .symbol:         _ZN7rocprim17ROCPRIM_400000_NS6detail17trampoline_kernelINS0_14default_configENS1_20scan_config_selectorIfEEZZNS1_9scan_implILNS1_25lookback_scan_determinismE0ELb1ELb1ES3_N6thrust23THRUST_200600_302600_NS6detail15normal_iteratorINS9_10device_ptrIKfEEEENSB_INSC_IfEEEEfNS9_4plusIvEEfEEDaPvRmT3_T4_T5_mT6_P12ihipStream_tbENKUlT_T0_E_clISt17integral_constantIbLb1EESX_EEDaSS_ST_EUlSS_E_NS1_11comp_targetILNS1_3genE2ELNS1_11target_archE906ELNS1_3gpuE6ELNS1_3repE0EEENS1_30default_config_static_selectorELNS0_4arch9wavefront6targetE1EEEvT1_.kd
    .uniform_work_group_size: 1
    .uses_dynamic_stack: false
    .vgpr_count:     0
    .vgpr_spill_count: 0
    .wavefront_size: 64
  - .agpr_count:     0
    .args:
      - .offset:         0
        .size:           96
        .value_kind:     by_value
    .group_segment_fixed_size: 0
    .kernarg_segment_align: 8
    .kernarg_segment_size: 96
    .language:       OpenCL C
    .language_version:
      - 2
      - 0
    .max_flat_workgroup_size: 256
    .name:           _ZN7rocprim17ROCPRIM_400000_NS6detail17trampoline_kernelINS0_14default_configENS1_20scan_config_selectorIfEEZZNS1_9scan_implILNS1_25lookback_scan_determinismE0ELb1ELb1ES3_N6thrust23THRUST_200600_302600_NS6detail15normal_iteratorINS9_10device_ptrIKfEEEENSB_INSC_IfEEEEfNS9_4plusIvEEfEEDaPvRmT3_T4_T5_mT6_P12ihipStream_tbENKUlT_T0_E_clISt17integral_constantIbLb1EESX_EEDaSS_ST_EUlSS_E_NS1_11comp_targetILNS1_3genE10ELNS1_11target_archE1201ELNS1_3gpuE5ELNS1_3repE0EEENS1_30default_config_static_selectorELNS0_4arch9wavefront6targetE1EEEvT1_
    .private_segment_fixed_size: 0
    .sgpr_count:     6
    .sgpr_spill_count: 0
    .symbol:         _ZN7rocprim17ROCPRIM_400000_NS6detail17trampoline_kernelINS0_14default_configENS1_20scan_config_selectorIfEEZZNS1_9scan_implILNS1_25lookback_scan_determinismE0ELb1ELb1ES3_N6thrust23THRUST_200600_302600_NS6detail15normal_iteratorINS9_10device_ptrIKfEEEENSB_INSC_IfEEEEfNS9_4plusIvEEfEEDaPvRmT3_T4_T5_mT6_P12ihipStream_tbENKUlT_T0_E_clISt17integral_constantIbLb1EESX_EEDaSS_ST_EUlSS_E_NS1_11comp_targetILNS1_3genE10ELNS1_11target_archE1201ELNS1_3gpuE5ELNS1_3repE0EEENS1_30default_config_static_selectorELNS0_4arch9wavefront6targetE1EEEvT1_.kd
    .uniform_work_group_size: 1
    .uses_dynamic_stack: false
    .vgpr_count:     0
    .vgpr_spill_count: 0
    .wavefront_size: 64
  - .agpr_count:     0
    .args:
      - .offset:         0
        .size:           96
        .value_kind:     by_value
    .group_segment_fixed_size: 0
    .kernarg_segment_align: 8
    .kernarg_segment_size: 96
    .language:       OpenCL C
    .language_version:
      - 2
      - 0
    .max_flat_workgroup_size: 256
    .name:           _ZN7rocprim17ROCPRIM_400000_NS6detail17trampoline_kernelINS0_14default_configENS1_20scan_config_selectorIfEEZZNS1_9scan_implILNS1_25lookback_scan_determinismE0ELb1ELb1ES3_N6thrust23THRUST_200600_302600_NS6detail15normal_iteratorINS9_10device_ptrIKfEEEENSB_INSC_IfEEEEfNS9_4plusIvEEfEEDaPvRmT3_T4_T5_mT6_P12ihipStream_tbENKUlT_T0_E_clISt17integral_constantIbLb1EESX_EEDaSS_ST_EUlSS_E_NS1_11comp_targetILNS1_3genE10ELNS1_11target_archE1200ELNS1_3gpuE4ELNS1_3repE0EEENS1_30default_config_static_selectorELNS0_4arch9wavefront6targetE1EEEvT1_
    .private_segment_fixed_size: 0
    .sgpr_count:     6
    .sgpr_spill_count: 0
    .symbol:         _ZN7rocprim17ROCPRIM_400000_NS6detail17trampoline_kernelINS0_14default_configENS1_20scan_config_selectorIfEEZZNS1_9scan_implILNS1_25lookback_scan_determinismE0ELb1ELb1ES3_N6thrust23THRUST_200600_302600_NS6detail15normal_iteratorINS9_10device_ptrIKfEEEENSB_INSC_IfEEEEfNS9_4plusIvEEfEEDaPvRmT3_T4_T5_mT6_P12ihipStream_tbENKUlT_T0_E_clISt17integral_constantIbLb1EESX_EEDaSS_ST_EUlSS_E_NS1_11comp_targetILNS1_3genE10ELNS1_11target_archE1200ELNS1_3gpuE4ELNS1_3repE0EEENS1_30default_config_static_selectorELNS0_4arch9wavefront6targetE1EEEvT1_.kd
    .uniform_work_group_size: 1
    .uses_dynamic_stack: false
    .vgpr_count:     0
    .vgpr_spill_count: 0
    .wavefront_size: 64
  - .agpr_count:     0
    .args:
      - .offset:         0
        .size:           96
        .value_kind:     by_value
    .group_segment_fixed_size: 0
    .kernarg_segment_align: 8
    .kernarg_segment_size: 96
    .language:       OpenCL C
    .language_version:
      - 2
      - 0
    .max_flat_workgroup_size: 256
    .name:           _ZN7rocprim17ROCPRIM_400000_NS6detail17trampoline_kernelINS0_14default_configENS1_20scan_config_selectorIfEEZZNS1_9scan_implILNS1_25lookback_scan_determinismE0ELb1ELb1ES3_N6thrust23THRUST_200600_302600_NS6detail15normal_iteratorINS9_10device_ptrIKfEEEENSB_INSC_IfEEEEfNS9_4plusIvEEfEEDaPvRmT3_T4_T5_mT6_P12ihipStream_tbENKUlT_T0_E_clISt17integral_constantIbLb1EESX_EEDaSS_ST_EUlSS_E_NS1_11comp_targetILNS1_3genE9ELNS1_11target_archE1100ELNS1_3gpuE3ELNS1_3repE0EEENS1_30default_config_static_selectorELNS0_4arch9wavefront6targetE1EEEvT1_
    .private_segment_fixed_size: 0
    .sgpr_count:     6
    .sgpr_spill_count: 0
    .symbol:         _ZN7rocprim17ROCPRIM_400000_NS6detail17trampoline_kernelINS0_14default_configENS1_20scan_config_selectorIfEEZZNS1_9scan_implILNS1_25lookback_scan_determinismE0ELb1ELb1ES3_N6thrust23THRUST_200600_302600_NS6detail15normal_iteratorINS9_10device_ptrIKfEEEENSB_INSC_IfEEEEfNS9_4plusIvEEfEEDaPvRmT3_T4_T5_mT6_P12ihipStream_tbENKUlT_T0_E_clISt17integral_constantIbLb1EESX_EEDaSS_ST_EUlSS_E_NS1_11comp_targetILNS1_3genE9ELNS1_11target_archE1100ELNS1_3gpuE3ELNS1_3repE0EEENS1_30default_config_static_selectorELNS0_4arch9wavefront6targetE1EEEvT1_.kd
    .uniform_work_group_size: 1
    .uses_dynamic_stack: false
    .vgpr_count:     0
    .vgpr_spill_count: 0
    .wavefront_size: 64
  - .agpr_count:     0
    .args:
      - .offset:         0
        .size:           96
        .value_kind:     by_value
    .group_segment_fixed_size: 0
    .kernarg_segment_align: 8
    .kernarg_segment_size: 96
    .language:       OpenCL C
    .language_version:
      - 2
      - 0
    .max_flat_workgroup_size: 64
    .name:           _ZN7rocprim17ROCPRIM_400000_NS6detail17trampoline_kernelINS0_14default_configENS1_20scan_config_selectorIfEEZZNS1_9scan_implILNS1_25lookback_scan_determinismE0ELb1ELb1ES3_N6thrust23THRUST_200600_302600_NS6detail15normal_iteratorINS9_10device_ptrIKfEEEENSB_INSC_IfEEEEfNS9_4plusIvEEfEEDaPvRmT3_T4_T5_mT6_P12ihipStream_tbENKUlT_T0_E_clISt17integral_constantIbLb1EESX_EEDaSS_ST_EUlSS_E_NS1_11comp_targetILNS1_3genE8ELNS1_11target_archE1030ELNS1_3gpuE2ELNS1_3repE0EEENS1_30default_config_static_selectorELNS0_4arch9wavefront6targetE1EEEvT1_
    .private_segment_fixed_size: 0
    .sgpr_count:     6
    .sgpr_spill_count: 0
    .symbol:         _ZN7rocprim17ROCPRIM_400000_NS6detail17trampoline_kernelINS0_14default_configENS1_20scan_config_selectorIfEEZZNS1_9scan_implILNS1_25lookback_scan_determinismE0ELb1ELb1ES3_N6thrust23THRUST_200600_302600_NS6detail15normal_iteratorINS9_10device_ptrIKfEEEENSB_INSC_IfEEEEfNS9_4plusIvEEfEEDaPvRmT3_T4_T5_mT6_P12ihipStream_tbENKUlT_T0_E_clISt17integral_constantIbLb1EESX_EEDaSS_ST_EUlSS_E_NS1_11comp_targetILNS1_3genE8ELNS1_11target_archE1030ELNS1_3gpuE2ELNS1_3repE0EEENS1_30default_config_static_selectorELNS0_4arch9wavefront6targetE1EEEvT1_.kd
    .uniform_work_group_size: 1
    .uses_dynamic_stack: false
    .vgpr_count:     0
    .vgpr_spill_count: 0
    .wavefront_size: 64
  - .agpr_count:     0
    .args:
      - .offset:         0
        .size:           32
        .value_kind:     by_value
    .group_segment_fixed_size: 0
    .kernarg_segment_align: 8
    .kernarg_segment_size: 32
    .language:       OpenCL C
    .language_version:
      - 2
      - 0
    .max_flat_workgroup_size: 256
    .name:           _ZN7rocprim17ROCPRIM_400000_NS6detail17trampoline_kernelINS0_14default_configENS1_20scan_config_selectorIfEEZZNS1_9scan_implILNS1_25lookback_scan_determinismE0ELb1ELb1ES3_N6thrust23THRUST_200600_302600_NS6detail15normal_iteratorINS9_10device_ptrIKfEEEENSB_INSC_IfEEEEfNS9_4plusIvEEfEEDaPvRmT3_T4_T5_mT6_P12ihipStream_tbENKUlT_T0_E_clISt17integral_constantIbLb1EESX_EEDaSS_ST_EUlSS_E0_NS1_11comp_targetILNS1_3genE0ELNS1_11target_archE4294967295ELNS1_3gpuE0ELNS1_3repE0EEENS1_30default_config_static_selectorELNS0_4arch9wavefront6targetE1EEEvT1_
    .private_segment_fixed_size: 0
    .sgpr_count:     6
    .sgpr_spill_count: 0
    .symbol:         _ZN7rocprim17ROCPRIM_400000_NS6detail17trampoline_kernelINS0_14default_configENS1_20scan_config_selectorIfEEZZNS1_9scan_implILNS1_25lookback_scan_determinismE0ELb1ELb1ES3_N6thrust23THRUST_200600_302600_NS6detail15normal_iteratorINS9_10device_ptrIKfEEEENSB_INSC_IfEEEEfNS9_4plusIvEEfEEDaPvRmT3_T4_T5_mT6_P12ihipStream_tbENKUlT_T0_E_clISt17integral_constantIbLb1EESX_EEDaSS_ST_EUlSS_E0_NS1_11comp_targetILNS1_3genE0ELNS1_11target_archE4294967295ELNS1_3gpuE0ELNS1_3repE0EEENS1_30default_config_static_selectorELNS0_4arch9wavefront6targetE1EEEvT1_.kd
    .uniform_work_group_size: 1
    .uses_dynamic_stack: false
    .vgpr_count:     0
    .vgpr_spill_count: 0
    .wavefront_size: 64
  - .agpr_count:     0
    .args:
      - .offset:         0
        .size:           32
        .value_kind:     by_value
    .group_segment_fixed_size: 24576
    .kernarg_segment_align: 8
    .kernarg_segment_size: 32
    .language:       OpenCL C
    .language_version:
      - 2
      - 0
    .max_flat_workgroup_size: 256
    .name:           _ZN7rocprim17ROCPRIM_400000_NS6detail17trampoline_kernelINS0_14default_configENS1_20scan_config_selectorIfEEZZNS1_9scan_implILNS1_25lookback_scan_determinismE0ELb1ELb1ES3_N6thrust23THRUST_200600_302600_NS6detail15normal_iteratorINS9_10device_ptrIKfEEEENSB_INSC_IfEEEEfNS9_4plusIvEEfEEDaPvRmT3_T4_T5_mT6_P12ihipStream_tbENKUlT_T0_E_clISt17integral_constantIbLb1EESX_EEDaSS_ST_EUlSS_E0_NS1_11comp_targetILNS1_3genE5ELNS1_11target_archE942ELNS1_3gpuE9ELNS1_3repE0EEENS1_30default_config_static_selectorELNS0_4arch9wavefront6targetE1EEEvT1_
    .private_segment_fixed_size: 0
    .sgpr_count:     65
    .sgpr_spill_count: 0
    .symbol:         _ZN7rocprim17ROCPRIM_400000_NS6detail17trampoline_kernelINS0_14default_configENS1_20scan_config_selectorIfEEZZNS1_9scan_implILNS1_25lookback_scan_determinismE0ELb1ELb1ES3_N6thrust23THRUST_200600_302600_NS6detail15normal_iteratorINS9_10device_ptrIKfEEEENSB_INSC_IfEEEEfNS9_4plusIvEEfEEDaPvRmT3_T4_T5_mT6_P12ihipStream_tbENKUlT_T0_E_clISt17integral_constantIbLb1EESX_EEDaSS_ST_EUlSS_E0_NS1_11comp_targetILNS1_3genE5ELNS1_11target_archE942ELNS1_3gpuE9ELNS1_3repE0EEENS1_30default_config_static_selectorELNS0_4arch9wavefront6targetE1EEEvT1_.kd
    .uniform_work_group_size: 1
    .uses_dynamic_stack: false
    .vgpr_count:     34
    .vgpr_spill_count: 0
    .wavefront_size: 64
  - .agpr_count:     0
    .args:
      - .offset:         0
        .size:           32
        .value_kind:     by_value
    .group_segment_fixed_size: 0
    .kernarg_segment_align: 8
    .kernarg_segment_size: 32
    .language:       OpenCL C
    .language_version:
      - 2
      - 0
    .max_flat_workgroup_size: 128
    .name:           _ZN7rocprim17ROCPRIM_400000_NS6detail17trampoline_kernelINS0_14default_configENS1_20scan_config_selectorIfEEZZNS1_9scan_implILNS1_25lookback_scan_determinismE0ELb1ELb1ES3_N6thrust23THRUST_200600_302600_NS6detail15normal_iteratorINS9_10device_ptrIKfEEEENSB_INSC_IfEEEEfNS9_4plusIvEEfEEDaPvRmT3_T4_T5_mT6_P12ihipStream_tbENKUlT_T0_E_clISt17integral_constantIbLb1EESX_EEDaSS_ST_EUlSS_E0_NS1_11comp_targetILNS1_3genE4ELNS1_11target_archE910ELNS1_3gpuE8ELNS1_3repE0EEENS1_30default_config_static_selectorELNS0_4arch9wavefront6targetE1EEEvT1_
    .private_segment_fixed_size: 0
    .sgpr_count:     6
    .sgpr_spill_count: 0
    .symbol:         _ZN7rocprim17ROCPRIM_400000_NS6detail17trampoline_kernelINS0_14default_configENS1_20scan_config_selectorIfEEZZNS1_9scan_implILNS1_25lookback_scan_determinismE0ELb1ELb1ES3_N6thrust23THRUST_200600_302600_NS6detail15normal_iteratorINS9_10device_ptrIKfEEEENSB_INSC_IfEEEEfNS9_4plusIvEEfEEDaPvRmT3_T4_T5_mT6_P12ihipStream_tbENKUlT_T0_E_clISt17integral_constantIbLb1EESX_EEDaSS_ST_EUlSS_E0_NS1_11comp_targetILNS1_3genE4ELNS1_11target_archE910ELNS1_3gpuE8ELNS1_3repE0EEENS1_30default_config_static_selectorELNS0_4arch9wavefront6targetE1EEEvT1_.kd
    .uniform_work_group_size: 1
    .uses_dynamic_stack: false
    .vgpr_count:     0
    .vgpr_spill_count: 0
    .wavefront_size: 64
  - .agpr_count:     0
    .args:
      - .offset:         0
        .size:           32
        .value_kind:     by_value
    .group_segment_fixed_size: 0
    .kernarg_segment_align: 8
    .kernarg_segment_size: 32
    .language:       OpenCL C
    .language_version:
      - 2
      - 0
    .max_flat_workgroup_size: 256
    .name:           _ZN7rocprim17ROCPRIM_400000_NS6detail17trampoline_kernelINS0_14default_configENS1_20scan_config_selectorIfEEZZNS1_9scan_implILNS1_25lookback_scan_determinismE0ELb1ELb1ES3_N6thrust23THRUST_200600_302600_NS6detail15normal_iteratorINS9_10device_ptrIKfEEEENSB_INSC_IfEEEEfNS9_4plusIvEEfEEDaPvRmT3_T4_T5_mT6_P12ihipStream_tbENKUlT_T0_E_clISt17integral_constantIbLb1EESX_EEDaSS_ST_EUlSS_E0_NS1_11comp_targetILNS1_3genE3ELNS1_11target_archE908ELNS1_3gpuE7ELNS1_3repE0EEENS1_30default_config_static_selectorELNS0_4arch9wavefront6targetE1EEEvT1_
    .private_segment_fixed_size: 0
    .sgpr_count:     6
    .sgpr_spill_count: 0
    .symbol:         _ZN7rocprim17ROCPRIM_400000_NS6detail17trampoline_kernelINS0_14default_configENS1_20scan_config_selectorIfEEZZNS1_9scan_implILNS1_25lookback_scan_determinismE0ELb1ELb1ES3_N6thrust23THRUST_200600_302600_NS6detail15normal_iteratorINS9_10device_ptrIKfEEEENSB_INSC_IfEEEEfNS9_4plusIvEEfEEDaPvRmT3_T4_T5_mT6_P12ihipStream_tbENKUlT_T0_E_clISt17integral_constantIbLb1EESX_EEDaSS_ST_EUlSS_E0_NS1_11comp_targetILNS1_3genE3ELNS1_11target_archE908ELNS1_3gpuE7ELNS1_3repE0EEENS1_30default_config_static_selectorELNS0_4arch9wavefront6targetE1EEEvT1_.kd
    .uniform_work_group_size: 1
    .uses_dynamic_stack: false
    .vgpr_count:     0
    .vgpr_spill_count: 0
    .wavefront_size: 64
  - .agpr_count:     0
    .args:
      - .offset:         0
        .size:           32
        .value_kind:     by_value
    .group_segment_fixed_size: 0
    .kernarg_segment_align: 8
    .kernarg_segment_size: 32
    .language:       OpenCL C
    .language_version:
      - 2
      - 0
    .max_flat_workgroup_size: 256
    .name:           _ZN7rocprim17ROCPRIM_400000_NS6detail17trampoline_kernelINS0_14default_configENS1_20scan_config_selectorIfEEZZNS1_9scan_implILNS1_25lookback_scan_determinismE0ELb1ELb1ES3_N6thrust23THRUST_200600_302600_NS6detail15normal_iteratorINS9_10device_ptrIKfEEEENSB_INSC_IfEEEEfNS9_4plusIvEEfEEDaPvRmT3_T4_T5_mT6_P12ihipStream_tbENKUlT_T0_E_clISt17integral_constantIbLb1EESX_EEDaSS_ST_EUlSS_E0_NS1_11comp_targetILNS1_3genE2ELNS1_11target_archE906ELNS1_3gpuE6ELNS1_3repE0EEENS1_30default_config_static_selectorELNS0_4arch9wavefront6targetE1EEEvT1_
    .private_segment_fixed_size: 0
    .sgpr_count:     6
    .sgpr_spill_count: 0
    .symbol:         _ZN7rocprim17ROCPRIM_400000_NS6detail17trampoline_kernelINS0_14default_configENS1_20scan_config_selectorIfEEZZNS1_9scan_implILNS1_25lookback_scan_determinismE0ELb1ELb1ES3_N6thrust23THRUST_200600_302600_NS6detail15normal_iteratorINS9_10device_ptrIKfEEEENSB_INSC_IfEEEEfNS9_4plusIvEEfEEDaPvRmT3_T4_T5_mT6_P12ihipStream_tbENKUlT_T0_E_clISt17integral_constantIbLb1EESX_EEDaSS_ST_EUlSS_E0_NS1_11comp_targetILNS1_3genE2ELNS1_11target_archE906ELNS1_3gpuE6ELNS1_3repE0EEENS1_30default_config_static_selectorELNS0_4arch9wavefront6targetE1EEEvT1_.kd
    .uniform_work_group_size: 1
    .uses_dynamic_stack: false
    .vgpr_count:     0
    .vgpr_spill_count: 0
    .wavefront_size: 64
  - .agpr_count:     0
    .args:
      - .offset:         0
        .size:           32
        .value_kind:     by_value
    .group_segment_fixed_size: 0
    .kernarg_segment_align: 8
    .kernarg_segment_size: 32
    .language:       OpenCL C
    .language_version:
      - 2
      - 0
    .max_flat_workgroup_size: 256
    .name:           _ZN7rocprim17ROCPRIM_400000_NS6detail17trampoline_kernelINS0_14default_configENS1_20scan_config_selectorIfEEZZNS1_9scan_implILNS1_25lookback_scan_determinismE0ELb1ELb1ES3_N6thrust23THRUST_200600_302600_NS6detail15normal_iteratorINS9_10device_ptrIKfEEEENSB_INSC_IfEEEEfNS9_4plusIvEEfEEDaPvRmT3_T4_T5_mT6_P12ihipStream_tbENKUlT_T0_E_clISt17integral_constantIbLb1EESX_EEDaSS_ST_EUlSS_E0_NS1_11comp_targetILNS1_3genE10ELNS1_11target_archE1201ELNS1_3gpuE5ELNS1_3repE0EEENS1_30default_config_static_selectorELNS0_4arch9wavefront6targetE1EEEvT1_
    .private_segment_fixed_size: 0
    .sgpr_count:     6
    .sgpr_spill_count: 0
    .symbol:         _ZN7rocprim17ROCPRIM_400000_NS6detail17trampoline_kernelINS0_14default_configENS1_20scan_config_selectorIfEEZZNS1_9scan_implILNS1_25lookback_scan_determinismE0ELb1ELb1ES3_N6thrust23THRUST_200600_302600_NS6detail15normal_iteratorINS9_10device_ptrIKfEEEENSB_INSC_IfEEEEfNS9_4plusIvEEfEEDaPvRmT3_T4_T5_mT6_P12ihipStream_tbENKUlT_T0_E_clISt17integral_constantIbLb1EESX_EEDaSS_ST_EUlSS_E0_NS1_11comp_targetILNS1_3genE10ELNS1_11target_archE1201ELNS1_3gpuE5ELNS1_3repE0EEENS1_30default_config_static_selectorELNS0_4arch9wavefront6targetE1EEEvT1_.kd
    .uniform_work_group_size: 1
    .uses_dynamic_stack: false
    .vgpr_count:     0
    .vgpr_spill_count: 0
    .wavefront_size: 64
  - .agpr_count:     0
    .args:
      - .offset:         0
        .size:           32
        .value_kind:     by_value
    .group_segment_fixed_size: 0
    .kernarg_segment_align: 8
    .kernarg_segment_size: 32
    .language:       OpenCL C
    .language_version:
      - 2
      - 0
    .max_flat_workgroup_size: 256
    .name:           _ZN7rocprim17ROCPRIM_400000_NS6detail17trampoline_kernelINS0_14default_configENS1_20scan_config_selectorIfEEZZNS1_9scan_implILNS1_25lookback_scan_determinismE0ELb1ELb1ES3_N6thrust23THRUST_200600_302600_NS6detail15normal_iteratorINS9_10device_ptrIKfEEEENSB_INSC_IfEEEEfNS9_4plusIvEEfEEDaPvRmT3_T4_T5_mT6_P12ihipStream_tbENKUlT_T0_E_clISt17integral_constantIbLb1EESX_EEDaSS_ST_EUlSS_E0_NS1_11comp_targetILNS1_3genE10ELNS1_11target_archE1200ELNS1_3gpuE4ELNS1_3repE0EEENS1_30default_config_static_selectorELNS0_4arch9wavefront6targetE1EEEvT1_
    .private_segment_fixed_size: 0
    .sgpr_count:     6
    .sgpr_spill_count: 0
    .symbol:         _ZN7rocprim17ROCPRIM_400000_NS6detail17trampoline_kernelINS0_14default_configENS1_20scan_config_selectorIfEEZZNS1_9scan_implILNS1_25lookback_scan_determinismE0ELb1ELb1ES3_N6thrust23THRUST_200600_302600_NS6detail15normal_iteratorINS9_10device_ptrIKfEEEENSB_INSC_IfEEEEfNS9_4plusIvEEfEEDaPvRmT3_T4_T5_mT6_P12ihipStream_tbENKUlT_T0_E_clISt17integral_constantIbLb1EESX_EEDaSS_ST_EUlSS_E0_NS1_11comp_targetILNS1_3genE10ELNS1_11target_archE1200ELNS1_3gpuE4ELNS1_3repE0EEENS1_30default_config_static_selectorELNS0_4arch9wavefront6targetE1EEEvT1_.kd
    .uniform_work_group_size: 1
    .uses_dynamic_stack: false
    .vgpr_count:     0
    .vgpr_spill_count: 0
    .wavefront_size: 64
  - .agpr_count:     0
    .args:
      - .offset:         0
        .size:           32
        .value_kind:     by_value
    .group_segment_fixed_size: 0
    .kernarg_segment_align: 8
    .kernarg_segment_size: 32
    .language:       OpenCL C
    .language_version:
      - 2
      - 0
    .max_flat_workgroup_size: 256
    .name:           _ZN7rocprim17ROCPRIM_400000_NS6detail17trampoline_kernelINS0_14default_configENS1_20scan_config_selectorIfEEZZNS1_9scan_implILNS1_25lookback_scan_determinismE0ELb1ELb1ES3_N6thrust23THRUST_200600_302600_NS6detail15normal_iteratorINS9_10device_ptrIKfEEEENSB_INSC_IfEEEEfNS9_4plusIvEEfEEDaPvRmT3_T4_T5_mT6_P12ihipStream_tbENKUlT_T0_E_clISt17integral_constantIbLb1EESX_EEDaSS_ST_EUlSS_E0_NS1_11comp_targetILNS1_3genE9ELNS1_11target_archE1100ELNS1_3gpuE3ELNS1_3repE0EEENS1_30default_config_static_selectorELNS0_4arch9wavefront6targetE1EEEvT1_
    .private_segment_fixed_size: 0
    .sgpr_count:     6
    .sgpr_spill_count: 0
    .symbol:         _ZN7rocprim17ROCPRIM_400000_NS6detail17trampoline_kernelINS0_14default_configENS1_20scan_config_selectorIfEEZZNS1_9scan_implILNS1_25lookback_scan_determinismE0ELb1ELb1ES3_N6thrust23THRUST_200600_302600_NS6detail15normal_iteratorINS9_10device_ptrIKfEEEENSB_INSC_IfEEEEfNS9_4plusIvEEfEEDaPvRmT3_T4_T5_mT6_P12ihipStream_tbENKUlT_T0_E_clISt17integral_constantIbLb1EESX_EEDaSS_ST_EUlSS_E0_NS1_11comp_targetILNS1_3genE9ELNS1_11target_archE1100ELNS1_3gpuE3ELNS1_3repE0EEENS1_30default_config_static_selectorELNS0_4arch9wavefront6targetE1EEEvT1_.kd
    .uniform_work_group_size: 1
    .uses_dynamic_stack: false
    .vgpr_count:     0
    .vgpr_spill_count: 0
    .wavefront_size: 64
  - .agpr_count:     0
    .args:
      - .offset:         0
        .size:           32
        .value_kind:     by_value
    .group_segment_fixed_size: 0
    .kernarg_segment_align: 8
    .kernarg_segment_size: 32
    .language:       OpenCL C
    .language_version:
      - 2
      - 0
    .max_flat_workgroup_size: 64
    .name:           _ZN7rocprim17ROCPRIM_400000_NS6detail17trampoline_kernelINS0_14default_configENS1_20scan_config_selectorIfEEZZNS1_9scan_implILNS1_25lookback_scan_determinismE0ELb1ELb1ES3_N6thrust23THRUST_200600_302600_NS6detail15normal_iteratorINS9_10device_ptrIKfEEEENSB_INSC_IfEEEEfNS9_4plusIvEEfEEDaPvRmT3_T4_T5_mT6_P12ihipStream_tbENKUlT_T0_E_clISt17integral_constantIbLb1EESX_EEDaSS_ST_EUlSS_E0_NS1_11comp_targetILNS1_3genE8ELNS1_11target_archE1030ELNS1_3gpuE2ELNS1_3repE0EEENS1_30default_config_static_selectorELNS0_4arch9wavefront6targetE1EEEvT1_
    .private_segment_fixed_size: 0
    .sgpr_count:     6
    .sgpr_spill_count: 0
    .symbol:         _ZN7rocprim17ROCPRIM_400000_NS6detail17trampoline_kernelINS0_14default_configENS1_20scan_config_selectorIfEEZZNS1_9scan_implILNS1_25lookback_scan_determinismE0ELb1ELb1ES3_N6thrust23THRUST_200600_302600_NS6detail15normal_iteratorINS9_10device_ptrIKfEEEENSB_INSC_IfEEEEfNS9_4plusIvEEfEEDaPvRmT3_T4_T5_mT6_P12ihipStream_tbENKUlT_T0_E_clISt17integral_constantIbLb1EESX_EEDaSS_ST_EUlSS_E0_NS1_11comp_targetILNS1_3genE8ELNS1_11target_archE1030ELNS1_3gpuE2ELNS1_3repE0EEENS1_30default_config_static_selectorELNS0_4arch9wavefront6targetE1EEEvT1_.kd
    .uniform_work_group_size: 1
    .uses_dynamic_stack: false
    .vgpr_count:     0
    .vgpr_spill_count: 0
    .wavefront_size: 64
  - .agpr_count:     0
    .args:
      - .address_space:  global
        .offset:         0
        .size:           8
        .value_kind:     global_buffer
      - .offset:         8
        .size:           4
        .value_kind:     by_value
      - .offset:         12
        .size:           1
        .value_kind:     by_value
      - .offset:         16
        .size:           4
        .value_kind:     by_value
      - .address_space:  global
        .offset:         24
        .size:           8
        .value_kind:     global_buffer
      - .offset:         32
        .size:           4
        .value_kind:     hidden_block_count_x
      - .offset:         36
        .size:           4
        .value_kind:     hidden_block_count_y
      - .offset:         40
        .size:           4
        .value_kind:     hidden_block_count_z
      - .offset:         44
        .size:           2
        .value_kind:     hidden_group_size_x
      - .offset:         46
        .size:           2
        .value_kind:     hidden_group_size_y
      - .offset:         48
        .size:           2
        .value_kind:     hidden_group_size_z
      - .offset:         50
        .size:           2
        .value_kind:     hidden_remainder_x
      - .offset:         52
        .size:           2
        .value_kind:     hidden_remainder_y
      - .offset:         54
        .size:           2
        .value_kind:     hidden_remainder_z
      - .offset:         72
        .size:           8
        .value_kind:     hidden_global_offset_x
      - .offset:         80
        .size:           8
        .value_kind:     hidden_global_offset_y
      - .offset:         88
        .size:           8
        .value_kind:     hidden_global_offset_z
      - .offset:         96
        .size:           2
        .value_kind:     hidden_grid_dims
    .group_segment_fixed_size: 0
    .kernarg_segment_align: 8
    .kernarg_segment_size: 288
    .language:       OpenCL C
    .language_version:
      - 2
      - 0
    .max_flat_workgroup_size: 256
    .name:           _ZN7rocprim17ROCPRIM_400000_NS6detail31init_lookback_scan_state_kernelINS1_19lookback_scan_stateIfLb1ELb1EEENS1_16block_id_wrapperIjLb0EEEEEvT_jT0_jPNS7_10value_typeE
    .private_segment_fixed_size: 0
    .sgpr_count:     18
    .sgpr_spill_count: 0
    .symbol:         _ZN7rocprim17ROCPRIM_400000_NS6detail31init_lookback_scan_state_kernelINS1_19lookback_scan_stateIfLb1ELb1EEENS1_16block_id_wrapperIjLb0EEEEEvT_jT0_jPNS7_10value_typeE.kd
    .uniform_work_group_size: 1
    .uses_dynamic_stack: false
    .vgpr_count:     6
    .vgpr_spill_count: 0
    .wavefront_size: 64
  - .agpr_count:     0
    .args:
      - .offset:         0
        .size:           96
        .value_kind:     by_value
    .group_segment_fixed_size: 0
    .kernarg_segment_align: 8
    .kernarg_segment_size: 96
    .language:       OpenCL C
    .language_version:
      - 2
      - 0
    .max_flat_workgroup_size: 256
    .name:           _ZN7rocprim17ROCPRIM_400000_NS6detail17trampoline_kernelINS0_14default_configENS1_20scan_config_selectorIfEEZZNS1_9scan_implILNS1_25lookback_scan_determinismE0ELb1ELb1ES3_N6thrust23THRUST_200600_302600_NS6detail15normal_iteratorINS9_10device_ptrIKfEEEENSB_INSC_IfEEEEfNS9_4plusIvEEfEEDaPvRmT3_T4_T5_mT6_P12ihipStream_tbENKUlT_T0_E_clISt17integral_constantIbLb1EESW_IbLb0EEEEDaSS_ST_EUlSS_E_NS1_11comp_targetILNS1_3genE0ELNS1_11target_archE4294967295ELNS1_3gpuE0ELNS1_3repE0EEENS1_30default_config_static_selectorELNS0_4arch9wavefront6targetE1EEEvT1_
    .private_segment_fixed_size: 0
    .sgpr_count:     6
    .sgpr_spill_count: 0
    .symbol:         _ZN7rocprim17ROCPRIM_400000_NS6detail17trampoline_kernelINS0_14default_configENS1_20scan_config_selectorIfEEZZNS1_9scan_implILNS1_25lookback_scan_determinismE0ELb1ELb1ES3_N6thrust23THRUST_200600_302600_NS6detail15normal_iteratorINS9_10device_ptrIKfEEEENSB_INSC_IfEEEEfNS9_4plusIvEEfEEDaPvRmT3_T4_T5_mT6_P12ihipStream_tbENKUlT_T0_E_clISt17integral_constantIbLb1EESW_IbLb0EEEEDaSS_ST_EUlSS_E_NS1_11comp_targetILNS1_3genE0ELNS1_11target_archE4294967295ELNS1_3gpuE0ELNS1_3repE0EEENS1_30default_config_static_selectorELNS0_4arch9wavefront6targetE1EEEvT1_.kd
    .uniform_work_group_size: 1
    .uses_dynamic_stack: false
    .vgpr_count:     0
    .vgpr_spill_count: 0
    .wavefront_size: 64
  - .agpr_count:     0
    .args:
      - .offset:         0
        .size:           96
        .value_kind:     by_value
    .group_segment_fixed_size: 24576
    .kernarg_segment_align: 8
    .kernarg_segment_size: 96
    .language:       OpenCL C
    .language_version:
      - 2
      - 0
    .max_flat_workgroup_size: 256
    .name:           _ZN7rocprim17ROCPRIM_400000_NS6detail17trampoline_kernelINS0_14default_configENS1_20scan_config_selectorIfEEZZNS1_9scan_implILNS1_25lookback_scan_determinismE0ELb1ELb1ES3_N6thrust23THRUST_200600_302600_NS6detail15normal_iteratorINS9_10device_ptrIKfEEEENSB_INSC_IfEEEEfNS9_4plusIvEEfEEDaPvRmT3_T4_T5_mT6_P12ihipStream_tbENKUlT_T0_E_clISt17integral_constantIbLb1EESW_IbLb0EEEEDaSS_ST_EUlSS_E_NS1_11comp_targetILNS1_3genE5ELNS1_11target_archE942ELNS1_3gpuE9ELNS1_3repE0EEENS1_30default_config_static_selectorELNS0_4arch9wavefront6targetE1EEEvT1_
    .private_segment_fixed_size: 0
    .sgpr_count:     38
    .sgpr_spill_count: 0
    .symbol:         _ZN7rocprim17ROCPRIM_400000_NS6detail17trampoline_kernelINS0_14default_configENS1_20scan_config_selectorIfEEZZNS1_9scan_implILNS1_25lookback_scan_determinismE0ELb1ELb1ES3_N6thrust23THRUST_200600_302600_NS6detail15normal_iteratorINS9_10device_ptrIKfEEEENSB_INSC_IfEEEEfNS9_4plusIvEEfEEDaPvRmT3_T4_T5_mT6_P12ihipStream_tbENKUlT_T0_E_clISt17integral_constantIbLb1EESW_IbLb0EEEEDaSS_ST_EUlSS_E_NS1_11comp_targetILNS1_3genE5ELNS1_11target_archE942ELNS1_3gpuE9ELNS1_3repE0EEENS1_30default_config_static_selectorELNS0_4arch9wavefront6targetE1EEEvT1_.kd
    .uniform_work_group_size: 1
    .uses_dynamic_stack: false
    .vgpr_count:     59
    .vgpr_spill_count: 0
    .wavefront_size: 64
  - .agpr_count:     0
    .args:
      - .offset:         0
        .size:           96
        .value_kind:     by_value
    .group_segment_fixed_size: 0
    .kernarg_segment_align: 8
    .kernarg_segment_size: 96
    .language:       OpenCL C
    .language_version:
      - 2
      - 0
    .max_flat_workgroup_size: 128
    .name:           _ZN7rocprim17ROCPRIM_400000_NS6detail17trampoline_kernelINS0_14default_configENS1_20scan_config_selectorIfEEZZNS1_9scan_implILNS1_25lookback_scan_determinismE0ELb1ELb1ES3_N6thrust23THRUST_200600_302600_NS6detail15normal_iteratorINS9_10device_ptrIKfEEEENSB_INSC_IfEEEEfNS9_4plusIvEEfEEDaPvRmT3_T4_T5_mT6_P12ihipStream_tbENKUlT_T0_E_clISt17integral_constantIbLb1EESW_IbLb0EEEEDaSS_ST_EUlSS_E_NS1_11comp_targetILNS1_3genE4ELNS1_11target_archE910ELNS1_3gpuE8ELNS1_3repE0EEENS1_30default_config_static_selectorELNS0_4arch9wavefront6targetE1EEEvT1_
    .private_segment_fixed_size: 0
    .sgpr_count:     6
    .sgpr_spill_count: 0
    .symbol:         _ZN7rocprim17ROCPRIM_400000_NS6detail17trampoline_kernelINS0_14default_configENS1_20scan_config_selectorIfEEZZNS1_9scan_implILNS1_25lookback_scan_determinismE0ELb1ELb1ES3_N6thrust23THRUST_200600_302600_NS6detail15normal_iteratorINS9_10device_ptrIKfEEEENSB_INSC_IfEEEEfNS9_4plusIvEEfEEDaPvRmT3_T4_T5_mT6_P12ihipStream_tbENKUlT_T0_E_clISt17integral_constantIbLb1EESW_IbLb0EEEEDaSS_ST_EUlSS_E_NS1_11comp_targetILNS1_3genE4ELNS1_11target_archE910ELNS1_3gpuE8ELNS1_3repE0EEENS1_30default_config_static_selectorELNS0_4arch9wavefront6targetE1EEEvT1_.kd
    .uniform_work_group_size: 1
    .uses_dynamic_stack: false
    .vgpr_count:     0
    .vgpr_spill_count: 0
    .wavefront_size: 64
  - .agpr_count:     0
    .args:
      - .offset:         0
        .size:           96
        .value_kind:     by_value
    .group_segment_fixed_size: 0
    .kernarg_segment_align: 8
    .kernarg_segment_size: 96
    .language:       OpenCL C
    .language_version:
      - 2
      - 0
    .max_flat_workgroup_size: 256
    .name:           _ZN7rocprim17ROCPRIM_400000_NS6detail17trampoline_kernelINS0_14default_configENS1_20scan_config_selectorIfEEZZNS1_9scan_implILNS1_25lookback_scan_determinismE0ELb1ELb1ES3_N6thrust23THRUST_200600_302600_NS6detail15normal_iteratorINS9_10device_ptrIKfEEEENSB_INSC_IfEEEEfNS9_4plusIvEEfEEDaPvRmT3_T4_T5_mT6_P12ihipStream_tbENKUlT_T0_E_clISt17integral_constantIbLb1EESW_IbLb0EEEEDaSS_ST_EUlSS_E_NS1_11comp_targetILNS1_3genE3ELNS1_11target_archE908ELNS1_3gpuE7ELNS1_3repE0EEENS1_30default_config_static_selectorELNS0_4arch9wavefront6targetE1EEEvT1_
    .private_segment_fixed_size: 0
    .sgpr_count:     6
    .sgpr_spill_count: 0
    .symbol:         _ZN7rocprim17ROCPRIM_400000_NS6detail17trampoline_kernelINS0_14default_configENS1_20scan_config_selectorIfEEZZNS1_9scan_implILNS1_25lookback_scan_determinismE0ELb1ELb1ES3_N6thrust23THRUST_200600_302600_NS6detail15normal_iteratorINS9_10device_ptrIKfEEEENSB_INSC_IfEEEEfNS9_4plusIvEEfEEDaPvRmT3_T4_T5_mT6_P12ihipStream_tbENKUlT_T0_E_clISt17integral_constantIbLb1EESW_IbLb0EEEEDaSS_ST_EUlSS_E_NS1_11comp_targetILNS1_3genE3ELNS1_11target_archE908ELNS1_3gpuE7ELNS1_3repE0EEENS1_30default_config_static_selectorELNS0_4arch9wavefront6targetE1EEEvT1_.kd
    .uniform_work_group_size: 1
    .uses_dynamic_stack: false
    .vgpr_count:     0
    .vgpr_spill_count: 0
    .wavefront_size: 64
  - .agpr_count:     0
    .args:
      - .offset:         0
        .size:           96
        .value_kind:     by_value
    .group_segment_fixed_size: 0
    .kernarg_segment_align: 8
    .kernarg_segment_size: 96
    .language:       OpenCL C
    .language_version:
      - 2
      - 0
    .max_flat_workgroup_size: 256
    .name:           _ZN7rocprim17ROCPRIM_400000_NS6detail17trampoline_kernelINS0_14default_configENS1_20scan_config_selectorIfEEZZNS1_9scan_implILNS1_25lookback_scan_determinismE0ELb1ELb1ES3_N6thrust23THRUST_200600_302600_NS6detail15normal_iteratorINS9_10device_ptrIKfEEEENSB_INSC_IfEEEEfNS9_4plusIvEEfEEDaPvRmT3_T4_T5_mT6_P12ihipStream_tbENKUlT_T0_E_clISt17integral_constantIbLb1EESW_IbLb0EEEEDaSS_ST_EUlSS_E_NS1_11comp_targetILNS1_3genE2ELNS1_11target_archE906ELNS1_3gpuE6ELNS1_3repE0EEENS1_30default_config_static_selectorELNS0_4arch9wavefront6targetE1EEEvT1_
    .private_segment_fixed_size: 0
    .sgpr_count:     6
    .sgpr_spill_count: 0
    .symbol:         _ZN7rocprim17ROCPRIM_400000_NS6detail17trampoline_kernelINS0_14default_configENS1_20scan_config_selectorIfEEZZNS1_9scan_implILNS1_25lookback_scan_determinismE0ELb1ELb1ES3_N6thrust23THRUST_200600_302600_NS6detail15normal_iteratorINS9_10device_ptrIKfEEEENSB_INSC_IfEEEEfNS9_4plusIvEEfEEDaPvRmT3_T4_T5_mT6_P12ihipStream_tbENKUlT_T0_E_clISt17integral_constantIbLb1EESW_IbLb0EEEEDaSS_ST_EUlSS_E_NS1_11comp_targetILNS1_3genE2ELNS1_11target_archE906ELNS1_3gpuE6ELNS1_3repE0EEENS1_30default_config_static_selectorELNS0_4arch9wavefront6targetE1EEEvT1_.kd
    .uniform_work_group_size: 1
    .uses_dynamic_stack: false
    .vgpr_count:     0
    .vgpr_spill_count: 0
    .wavefront_size: 64
  - .agpr_count:     0
    .args:
      - .offset:         0
        .size:           96
        .value_kind:     by_value
    .group_segment_fixed_size: 0
    .kernarg_segment_align: 8
    .kernarg_segment_size: 96
    .language:       OpenCL C
    .language_version:
      - 2
      - 0
    .max_flat_workgroup_size: 256
    .name:           _ZN7rocprim17ROCPRIM_400000_NS6detail17trampoline_kernelINS0_14default_configENS1_20scan_config_selectorIfEEZZNS1_9scan_implILNS1_25lookback_scan_determinismE0ELb1ELb1ES3_N6thrust23THRUST_200600_302600_NS6detail15normal_iteratorINS9_10device_ptrIKfEEEENSB_INSC_IfEEEEfNS9_4plusIvEEfEEDaPvRmT3_T4_T5_mT6_P12ihipStream_tbENKUlT_T0_E_clISt17integral_constantIbLb1EESW_IbLb0EEEEDaSS_ST_EUlSS_E_NS1_11comp_targetILNS1_3genE10ELNS1_11target_archE1201ELNS1_3gpuE5ELNS1_3repE0EEENS1_30default_config_static_selectorELNS0_4arch9wavefront6targetE1EEEvT1_
    .private_segment_fixed_size: 0
    .sgpr_count:     6
    .sgpr_spill_count: 0
    .symbol:         _ZN7rocprim17ROCPRIM_400000_NS6detail17trampoline_kernelINS0_14default_configENS1_20scan_config_selectorIfEEZZNS1_9scan_implILNS1_25lookback_scan_determinismE0ELb1ELb1ES3_N6thrust23THRUST_200600_302600_NS6detail15normal_iteratorINS9_10device_ptrIKfEEEENSB_INSC_IfEEEEfNS9_4plusIvEEfEEDaPvRmT3_T4_T5_mT6_P12ihipStream_tbENKUlT_T0_E_clISt17integral_constantIbLb1EESW_IbLb0EEEEDaSS_ST_EUlSS_E_NS1_11comp_targetILNS1_3genE10ELNS1_11target_archE1201ELNS1_3gpuE5ELNS1_3repE0EEENS1_30default_config_static_selectorELNS0_4arch9wavefront6targetE1EEEvT1_.kd
    .uniform_work_group_size: 1
    .uses_dynamic_stack: false
    .vgpr_count:     0
    .vgpr_spill_count: 0
    .wavefront_size: 64
  - .agpr_count:     0
    .args:
      - .offset:         0
        .size:           96
        .value_kind:     by_value
    .group_segment_fixed_size: 0
    .kernarg_segment_align: 8
    .kernarg_segment_size: 96
    .language:       OpenCL C
    .language_version:
      - 2
      - 0
    .max_flat_workgroup_size: 256
    .name:           _ZN7rocprim17ROCPRIM_400000_NS6detail17trampoline_kernelINS0_14default_configENS1_20scan_config_selectorIfEEZZNS1_9scan_implILNS1_25lookback_scan_determinismE0ELb1ELb1ES3_N6thrust23THRUST_200600_302600_NS6detail15normal_iteratorINS9_10device_ptrIKfEEEENSB_INSC_IfEEEEfNS9_4plusIvEEfEEDaPvRmT3_T4_T5_mT6_P12ihipStream_tbENKUlT_T0_E_clISt17integral_constantIbLb1EESW_IbLb0EEEEDaSS_ST_EUlSS_E_NS1_11comp_targetILNS1_3genE10ELNS1_11target_archE1200ELNS1_3gpuE4ELNS1_3repE0EEENS1_30default_config_static_selectorELNS0_4arch9wavefront6targetE1EEEvT1_
    .private_segment_fixed_size: 0
    .sgpr_count:     6
    .sgpr_spill_count: 0
    .symbol:         _ZN7rocprim17ROCPRIM_400000_NS6detail17trampoline_kernelINS0_14default_configENS1_20scan_config_selectorIfEEZZNS1_9scan_implILNS1_25lookback_scan_determinismE0ELb1ELb1ES3_N6thrust23THRUST_200600_302600_NS6detail15normal_iteratorINS9_10device_ptrIKfEEEENSB_INSC_IfEEEEfNS9_4plusIvEEfEEDaPvRmT3_T4_T5_mT6_P12ihipStream_tbENKUlT_T0_E_clISt17integral_constantIbLb1EESW_IbLb0EEEEDaSS_ST_EUlSS_E_NS1_11comp_targetILNS1_3genE10ELNS1_11target_archE1200ELNS1_3gpuE4ELNS1_3repE0EEENS1_30default_config_static_selectorELNS0_4arch9wavefront6targetE1EEEvT1_.kd
    .uniform_work_group_size: 1
    .uses_dynamic_stack: false
    .vgpr_count:     0
    .vgpr_spill_count: 0
    .wavefront_size: 64
  - .agpr_count:     0
    .args:
      - .offset:         0
        .size:           96
        .value_kind:     by_value
    .group_segment_fixed_size: 0
    .kernarg_segment_align: 8
    .kernarg_segment_size: 96
    .language:       OpenCL C
    .language_version:
      - 2
      - 0
    .max_flat_workgroup_size: 256
    .name:           _ZN7rocprim17ROCPRIM_400000_NS6detail17trampoline_kernelINS0_14default_configENS1_20scan_config_selectorIfEEZZNS1_9scan_implILNS1_25lookback_scan_determinismE0ELb1ELb1ES3_N6thrust23THRUST_200600_302600_NS6detail15normal_iteratorINS9_10device_ptrIKfEEEENSB_INSC_IfEEEEfNS9_4plusIvEEfEEDaPvRmT3_T4_T5_mT6_P12ihipStream_tbENKUlT_T0_E_clISt17integral_constantIbLb1EESW_IbLb0EEEEDaSS_ST_EUlSS_E_NS1_11comp_targetILNS1_3genE9ELNS1_11target_archE1100ELNS1_3gpuE3ELNS1_3repE0EEENS1_30default_config_static_selectorELNS0_4arch9wavefront6targetE1EEEvT1_
    .private_segment_fixed_size: 0
    .sgpr_count:     6
    .sgpr_spill_count: 0
    .symbol:         _ZN7rocprim17ROCPRIM_400000_NS6detail17trampoline_kernelINS0_14default_configENS1_20scan_config_selectorIfEEZZNS1_9scan_implILNS1_25lookback_scan_determinismE0ELb1ELb1ES3_N6thrust23THRUST_200600_302600_NS6detail15normal_iteratorINS9_10device_ptrIKfEEEENSB_INSC_IfEEEEfNS9_4plusIvEEfEEDaPvRmT3_T4_T5_mT6_P12ihipStream_tbENKUlT_T0_E_clISt17integral_constantIbLb1EESW_IbLb0EEEEDaSS_ST_EUlSS_E_NS1_11comp_targetILNS1_3genE9ELNS1_11target_archE1100ELNS1_3gpuE3ELNS1_3repE0EEENS1_30default_config_static_selectorELNS0_4arch9wavefront6targetE1EEEvT1_.kd
    .uniform_work_group_size: 1
    .uses_dynamic_stack: false
    .vgpr_count:     0
    .vgpr_spill_count: 0
    .wavefront_size: 64
  - .agpr_count:     0
    .args:
      - .offset:         0
        .size:           96
        .value_kind:     by_value
    .group_segment_fixed_size: 0
    .kernarg_segment_align: 8
    .kernarg_segment_size: 96
    .language:       OpenCL C
    .language_version:
      - 2
      - 0
    .max_flat_workgroup_size: 64
    .name:           _ZN7rocprim17ROCPRIM_400000_NS6detail17trampoline_kernelINS0_14default_configENS1_20scan_config_selectorIfEEZZNS1_9scan_implILNS1_25lookback_scan_determinismE0ELb1ELb1ES3_N6thrust23THRUST_200600_302600_NS6detail15normal_iteratorINS9_10device_ptrIKfEEEENSB_INSC_IfEEEEfNS9_4plusIvEEfEEDaPvRmT3_T4_T5_mT6_P12ihipStream_tbENKUlT_T0_E_clISt17integral_constantIbLb1EESW_IbLb0EEEEDaSS_ST_EUlSS_E_NS1_11comp_targetILNS1_3genE8ELNS1_11target_archE1030ELNS1_3gpuE2ELNS1_3repE0EEENS1_30default_config_static_selectorELNS0_4arch9wavefront6targetE1EEEvT1_
    .private_segment_fixed_size: 0
    .sgpr_count:     6
    .sgpr_spill_count: 0
    .symbol:         _ZN7rocprim17ROCPRIM_400000_NS6detail17trampoline_kernelINS0_14default_configENS1_20scan_config_selectorIfEEZZNS1_9scan_implILNS1_25lookback_scan_determinismE0ELb1ELb1ES3_N6thrust23THRUST_200600_302600_NS6detail15normal_iteratorINS9_10device_ptrIKfEEEENSB_INSC_IfEEEEfNS9_4plusIvEEfEEDaPvRmT3_T4_T5_mT6_P12ihipStream_tbENKUlT_T0_E_clISt17integral_constantIbLb1EESW_IbLb0EEEEDaSS_ST_EUlSS_E_NS1_11comp_targetILNS1_3genE8ELNS1_11target_archE1030ELNS1_3gpuE2ELNS1_3repE0EEENS1_30default_config_static_selectorELNS0_4arch9wavefront6targetE1EEEvT1_.kd
    .uniform_work_group_size: 1
    .uses_dynamic_stack: false
    .vgpr_count:     0
    .vgpr_spill_count: 0
    .wavefront_size: 64
  - .agpr_count:     0
    .args:
      - .offset:         0
        .size:           32
        .value_kind:     by_value
    .group_segment_fixed_size: 0
    .kernarg_segment_align: 8
    .kernarg_segment_size: 32
    .language:       OpenCL C
    .language_version:
      - 2
      - 0
    .max_flat_workgroup_size: 256
    .name:           _ZN7rocprim17ROCPRIM_400000_NS6detail17trampoline_kernelINS0_14default_configENS1_20scan_config_selectorIfEEZZNS1_9scan_implILNS1_25lookback_scan_determinismE0ELb1ELb1ES3_N6thrust23THRUST_200600_302600_NS6detail15normal_iteratorINS9_10device_ptrIKfEEEENSB_INSC_IfEEEEfNS9_4plusIvEEfEEDaPvRmT3_T4_T5_mT6_P12ihipStream_tbENKUlT_T0_E_clISt17integral_constantIbLb1EESW_IbLb0EEEEDaSS_ST_EUlSS_E0_NS1_11comp_targetILNS1_3genE0ELNS1_11target_archE4294967295ELNS1_3gpuE0ELNS1_3repE0EEENS1_30default_config_static_selectorELNS0_4arch9wavefront6targetE1EEEvT1_
    .private_segment_fixed_size: 0
    .sgpr_count:     6
    .sgpr_spill_count: 0
    .symbol:         _ZN7rocprim17ROCPRIM_400000_NS6detail17trampoline_kernelINS0_14default_configENS1_20scan_config_selectorIfEEZZNS1_9scan_implILNS1_25lookback_scan_determinismE0ELb1ELb1ES3_N6thrust23THRUST_200600_302600_NS6detail15normal_iteratorINS9_10device_ptrIKfEEEENSB_INSC_IfEEEEfNS9_4plusIvEEfEEDaPvRmT3_T4_T5_mT6_P12ihipStream_tbENKUlT_T0_E_clISt17integral_constantIbLb1EESW_IbLb0EEEEDaSS_ST_EUlSS_E0_NS1_11comp_targetILNS1_3genE0ELNS1_11target_archE4294967295ELNS1_3gpuE0ELNS1_3repE0EEENS1_30default_config_static_selectorELNS0_4arch9wavefront6targetE1EEEvT1_.kd
    .uniform_work_group_size: 1
    .uses_dynamic_stack: false
    .vgpr_count:     0
    .vgpr_spill_count: 0
    .wavefront_size: 64
  - .agpr_count:     0
    .args:
      - .offset:         0
        .size:           32
        .value_kind:     by_value
    .group_segment_fixed_size: 24576
    .kernarg_segment_align: 8
    .kernarg_segment_size: 32
    .language:       OpenCL C
    .language_version:
      - 2
      - 0
    .max_flat_workgroup_size: 256
    .name:           _ZN7rocprim17ROCPRIM_400000_NS6detail17trampoline_kernelINS0_14default_configENS1_20scan_config_selectorIfEEZZNS1_9scan_implILNS1_25lookback_scan_determinismE0ELb1ELb1ES3_N6thrust23THRUST_200600_302600_NS6detail15normal_iteratorINS9_10device_ptrIKfEEEENSB_INSC_IfEEEEfNS9_4plusIvEEfEEDaPvRmT3_T4_T5_mT6_P12ihipStream_tbENKUlT_T0_E_clISt17integral_constantIbLb1EESW_IbLb0EEEEDaSS_ST_EUlSS_E0_NS1_11comp_targetILNS1_3genE5ELNS1_11target_archE942ELNS1_3gpuE9ELNS1_3repE0EEENS1_30default_config_static_selectorELNS0_4arch9wavefront6targetE1EEEvT1_
    .private_segment_fixed_size: 0
    .sgpr_count:     65
    .sgpr_spill_count: 0
    .symbol:         _ZN7rocprim17ROCPRIM_400000_NS6detail17trampoline_kernelINS0_14default_configENS1_20scan_config_selectorIfEEZZNS1_9scan_implILNS1_25lookback_scan_determinismE0ELb1ELb1ES3_N6thrust23THRUST_200600_302600_NS6detail15normal_iteratorINS9_10device_ptrIKfEEEENSB_INSC_IfEEEEfNS9_4plusIvEEfEEDaPvRmT3_T4_T5_mT6_P12ihipStream_tbENKUlT_T0_E_clISt17integral_constantIbLb1EESW_IbLb0EEEEDaSS_ST_EUlSS_E0_NS1_11comp_targetILNS1_3genE5ELNS1_11target_archE942ELNS1_3gpuE9ELNS1_3repE0EEENS1_30default_config_static_selectorELNS0_4arch9wavefront6targetE1EEEvT1_.kd
    .uniform_work_group_size: 1
    .uses_dynamic_stack: false
    .vgpr_count:     34
    .vgpr_spill_count: 0
    .wavefront_size: 64
  - .agpr_count:     0
    .args:
      - .offset:         0
        .size:           32
        .value_kind:     by_value
    .group_segment_fixed_size: 0
    .kernarg_segment_align: 8
    .kernarg_segment_size: 32
    .language:       OpenCL C
    .language_version:
      - 2
      - 0
    .max_flat_workgroup_size: 128
    .name:           _ZN7rocprim17ROCPRIM_400000_NS6detail17trampoline_kernelINS0_14default_configENS1_20scan_config_selectorIfEEZZNS1_9scan_implILNS1_25lookback_scan_determinismE0ELb1ELb1ES3_N6thrust23THRUST_200600_302600_NS6detail15normal_iteratorINS9_10device_ptrIKfEEEENSB_INSC_IfEEEEfNS9_4plusIvEEfEEDaPvRmT3_T4_T5_mT6_P12ihipStream_tbENKUlT_T0_E_clISt17integral_constantIbLb1EESW_IbLb0EEEEDaSS_ST_EUlSS_E0_NS1_11comp_targetILNS1_3genE4ELNS1_11target_archE910ELNS1_3gpuE8ELNS1_3repE0EEENS1_30default_config_static_selectorELNS0_4arch9wavefront6targetE1EEEvT1_
    .private_segment_fixed_size: 0
    .sgpr_count:     6
    .sgpr_spill_count: 0
    .symbol:         _ZN7rocprim17ROCPRIM_400000_NS6detail17trampoline_kernelINS0_14default_configENS1_20scan_config_selectorIfEEZZNS1_9scan_implILNS1_25lookback_scan_determinismE0ELb1ELb1ES3_N6thrust23THRUST_200600_302600_NS6detail15normal_iteratorINS9_10device_ptrIKfEEEENSB_INSC_IfEEEEfNS9_4plusIvEEfEEDaPvRmT3_T4_T5_mT6_P12ihipStream_tbENKUlT_T0_E_clISt17integral_constantIbLb1EESW_IbLb0EEEEDaSS_ST_EUlSS_E0_NS1_11comp_targetILNS1_3genE4ELNS1_11target_archE910ELNS1_3gpuE8ELNS1_3repE0EEENS1_30default_config_static_selectorELNS0_4arch9wavefront6targetE1EEEvT1_.kd
    .uniform_work_group_size: 1
    .uses_dynamic_stack: false
    .vgpr_count:     0
    .vgpr_spill_count: 0
    .wavefront_size: 64
  - .agpr_count:     0
    .args:
      - .offset:         0
        .size:           32
        .value_kind:     by_value
    .group_segment_fixed_size: 0
    .kernarg_segment_align: 8
    .kernarg_segment_size: 32
    .language:       OpenCL C
    .language_version:
      - 2
      - 0
    .max_flat_workgroup_size: 256
    .name:           _ZN7rocprim17ROCPRIM_400000_NS6detail17trampoline_kernelINS0_14default_configENS1_20scan_config_selectorIfEEZZNS1_9scan_implILNS1_25lookback_scan_determinismE0ELb1ELb1ES3_N6thrust23THRUST_200600_302600_NS6detail15normal_iteratorINS9_10device_ptrIKfEEEENSB_INSC_IfEEEEfNS9_4plusIvEEfEEDaPvRmT3_T4_T5_mT6_P12ihipStream_tbENKUlT_T0_E_clISt17integral_constantIbLb1EESW_IbLb0EEEEDaSS_ST_EUlSS_E0_NS1_11comp_targetILNS1_3genE3ELNS1_11target_archE908ELNS1_3gpuE7ELNS1_3repE0EEENS1_30default_config_static_selectorELNS0_4arch9wavefront6targetE1EEEvT1_
    .private_segment_fixed_size: 0
    .sgpr_count:     6
    .sgpr_spill_count: 0
    .symbol:         _ZN7rocprim17ROCPRIM_400000_NS6detail17trampoline_kernelINS0_14default_configENS1_20scan_config_selectorIfEEZZNS1_9scan_implILNS1_25lookback_scan_determinismE0ELb1ELb1ES3_N6thrust23THRUST_200600_302600_NS6detail15normal_iteratorINS9_10device_ptrIKfEEEENSB_INSC_IfEEEEfNS9_4plusIvEEfEEDaPvRmT3_T4_T5_mT6_P12ihipStream_tbENKUlT_T0_E_clISt17integral_constantIbLb1EESW_IbLb0EEEEDaSS_ST_EUlSS_E0_NS1_11comp_targetILNS1_3genE3ELNS1_11target_archE908ELNS1_3gpuE7ELNS1_3repE0EEENS1_30default_config_static_selectorELNS0_4arch9wavefront6targetE1EEEvT1_.kd
    .uniform_work_group_size: 1
    .uses_dynamic_stack: false
    .vgpr_count:     0
    .vgpr_spill_count: 0
    .wavefront_size: 64
  - .agpr_count:     0
    .args:
      - .offset:         0
        .size:           32
        .value_kind:     by_value
    .group_segment_fixed_size: 0
    .kernarg_segment_align: 8
    .kernarg_segment_size: 32
    .language:       OpenCL C
    .language_version:
      - 2
      - 0
    .max_flat_workgroup_size: 256
    .name:           _ZN7rocprim17ROCPRIM_400000_NS6detail17trampoline_kernelINS0_14default_configENS1_20scan_config_selectorIfEEZZNS1_9scan_implILNS1_25lookback_scan_determinismE0ELb1ELb1ES3_N6thrust23THRUST_200600_302600_NS6detail15normal_iteratorINS9_10device_ptrIKfEEEENSB_INSC_IfEEEEfNS9_4plusIvEEfEEDaPvRmT3_T4_T5_mT6_P12ihipStream_tbENKUlT_T0_E_clISt17integral_constantIbLb1EESW_IbLb0EEEEDaSS_ST_EUlSS_E0_NS1_11comp_targetILNS1_3genE2ELNS1_11target_archE906ELNS1_3gpuE6ELNS1_3repE0EEENS1_30default_config_static_selectorELNS0_4arch9wavefront6targetE1EEEvT1_
    .private_segment_fixed_size: 0
    .sgpr_count:     6
    .sgpr_spill_count: 0
    .symbol:         _ZN7rocprim17ROCPRIM_400000_NS6detail17trampoline_kernelINS0_14default_configENS1_20scan_config_selectorIfEEZZNS1_9scan_implILNS1_25lookback_scan_determinismE0ELb1ELb1ES3_N6thrust23THRUST_200600_302600_NS6detail15normal_iteratorINS9_10device_ptrIKfEEEENSB_INSC_IfEEEEfNS9_4plusIvEEfEEDaPvRmT3_T4_T5_mT6_P12ihipStream_tbENKUlT_T0_E_clISt17integral_constantIbLb1EESW_IbLb0EEEEDaSS_ST_EUlSS_E0_NS1_11comp_targetILNS1_3genE2ELNS1_11target_archE906ELNS1_3gpuE6ELNS1_3repE0EEENS1_30default_config_static_selectorELNS0_4arch9wavefront6targetE1EEEvT1_.kd
    .uniform_work_group_size: 1
    .uses_dynamic_stack: false
    .vgpr_count:     0
    .vgpr_spill_count: 0
    .wavefront_size: 64
  - .agpr_count:     0
    .args:
      - .offset:         0
        .size:           32
        .value_kind:     by_value
    .group_segment_fixed_size: 0
    .kernarg_segment_align: 8
    .kernarg_segment_size: 32
    .language:       OpenCL C
    .language_version:
      - 2
      - 0
    .max_flat_workgroup_size: 256
    .name:           _ZN7rocprim17ROCPRIM_400000_NS6detail17trampoline_kernelINS0_14default_configENS1_20scan_config_selectorIfEEZZNS1_9scan_implILNS1_25lookback_scan_determinismE0ELb1ELb1ES3_N6thrust23THRUST_200600_302600_NS6detail15normal_iteratorINS9_10device_ptrIKfEEEENSB_INSC_IfEEEEfNS9_4plusIvEEfEEDaPvRmT3_T4_T5_mT6_P12ihipStream_tbENKUlT_T0_E_clISt17integral_constantIbLb1EESW_IbLb0EEEEDaSS_ST_EUlSS_E0_NS1_11comp_targetILNS1_3genE10ELNS1_11target_archE1201ELNS1_3gpuE5ELNS1_3repE0EEENS1_30default_config_static_selectorELNS0_4arch9wavefront6targetE1EEEvT1_
    .private_segment_fixed_size: 0
    .sgpr_count:     6
    .sgpr_spill_count: 0
    .symbol:         _ZN7rocprim17ROCPRIM_400000_NS6detail17trampoline_kernelINS0_14default_configENS1_20scan_config_selectorIfEEZZNS1_9scan_implILNS1_25lookback_scan_determinismE0ELb1ELb1ES3_N6thrust23THRUST_200600_302600_NS6detail15normal_iteratorINS9_10device_ptrIKfEEEENSB_INSC_IfEEEEfNS9_4plusIvEEfEEDaPvRmT3_T4_T5_mT6_P12ihipStream_tbENKUlT_T0_E_clISt17integral_constantIbLb1EESW_IbLb0EEEEDaSS_ST_EUlSS_E0_NS1_11comp_targetILNS1_3genE10ELNS1_11target_archE1201ELNS1_3gpuE5ELNS1_3repE0EEENS1_30default_config_static_selectorELNS0_4arch9wavefront6targetE1EEEvT1_.kd
    .uniform_work_group_size: 1
    .uses_dynamic_stack: false
    .vgpr_count:     0
    .vgpr_spill_count: 0
    .wavefront_size: 64
  - .agpr_count:     0
    .args:
      - .offset:         0
        .size:           32
        .value_kind:     by_value
    .group_segment_fixed_size: 0
    .kernarg_segment_align: 8
    .kernarg_segment_size: 32
    .language:       OpenCL C
    .language_version:
      - 2
      - 0
    .max_flat_workgroup_size: 256
    .name:           _ZN7rocprim17ROCPRIM_400000_NS6detail17trampoline_kernelINS0_14default_configENS1_20scan_config_selectorIfEEZZNS1_9scan_implILNS1_25lookback_scan_determinismE0ELb1ELb1ES3_N6thrust23THRUST_200600_302600_NS6detail15normal_iteratorINS9_10device_ptrIKfEEEENSB_INSC_IfEEEEfNS9_4plusIvEEfEEDaPvRmT3_T4_T5_mT6_P12ihipStream_tbENKUlT_T0_E_clISt17integral_constantIbLb1EESW_IbLb0EEEEDaSS_ST_EUlSS_E0_NS1_11comp_targetILNS1_3genE10ELNS1_11target_archE1200ELNS1_3gpuE4ELNS1_3repE0EEENS1_30default_config_static_selectorELNS0_4arch9wavefront6targetE1EEEvT1_
    .private_segment_fixed_size: 0
    .sgpr_count:     6
    .sgpr_spill_count: 0
    .symbol:         _ZN7rocprim17ROCPRIM_400000_NS6detail17trampoline_kernelINS0_14default_configENS1_20scan_config_selectorIfEEZZNS1_9scan_implILNS1_25lookback_scan_determinismE0ELb1ELb1ES3_N6thrust23THRUST_200600_302600_NS6detail15normal_iteratorINS9_10device_ptrIKfEEEENSB_INSC_IfEEEEfNS9_4plusIvEEfEEDaPvRmT3_T4_T5_mT6_P12ihipStream_tbENKUlT_T0_E_clISt17integral_constantIbLb1EESW_IbLb0EEEEDaSS_ST_EUlSS_E0_NS1_11comp_targetILNS1_3genE10ELNS1_11target_archE1200ELNS1_3gpuE4ELNS1_3repE0EEENS1_30default_config_static_selectorELNS0_4arch9wavefront6targetE1EEEvT1_.kd
    .uniform_work_group_size: 1
    .uses_dynamic_stack: false
    .vgpr_count:     0
    .vgpr_spill_count: 0
    .wavefront_size: 64
  - .agpr_count:     0
    .args:
      - .offset:         0
        .size:           32
        .value_kind:     by_value
    .group_segment_fixed_size: 0
    .kernarg_segment_align: 8
    .kernarg_segment_size: 32
    .language:       OpenCL C
    .language_version:
      - 2
      - 0
    .max_flat_workgroup_size: 256
    .name:           _ZN7rocprim17ROCPRIM_400000_NS6detail17trampoline_kernelINS0_14default_configENS1_20scan_config_selectorIfEEZZNS1_9scan_implILNS1_25lookback_scan_determinismE0ELb1ELb1ES3_N6thrust23THRUST_200600_302600_NS6detail15normal_iteratorINS9_10device_ptrIKfEEEENSB_INSC_IfEEEEfNS9_4plusIvEEfEEDaPvRmT3_T4_T5_mT6_P12ihipStream_tbENKUlT_T0_E_clISt17integral_constantIbLb1EESW_IbLb0EEEEDaSS_ST_EUlSS_E0_NS1_11comp_targetILNS1_3genE9ELNS1_11target_archE1100ELNS1_3gpuE3ELNS1_3repE0EEENS1_30default_config_static_selectorELNS0_4arch9wavefront6targetE1EEEvT1_
    .private_segment_fixed_size: 0
    .sgpr_count:     6
    .sgpr_spill_count: 0
    .symbol:         _ZN7rocprim17ROCPRIM_400000_NS6detail17trampoline_kernelINS0_14default_configENS1_20scan_config_selectorIfEEZZNS1_9scan_implILNS1_25lookback_scan_determinismE0ELb1ELb1ES3_N6thrust23THRUST_200600_302600_NS6detail15normal_iteratorINS9_10device_ptrIKfEEEENSB_INSC_IfEEEEfNS9_4plusIvEEfEEDaPvRmT3_T4_T5_mT6_P12ihipStream_tbENKUlT_T0_E_clISt17integral_constantIbLb1EESW_IbLb0EEEEDaSS_ST_EUlSS_E0_NS1_11comp_targetILNS1_3genE9ELNS1_11target_archE1100ELNS1_3gpuE3ELNS1_3repE0EEENS1_30default_config_static_selectorELNS0_4arch9wavefront6targetE1EEEvT1_.kd
    .uniform_work_group_size: 1
    .uses_dynamic_stack: false
    .vgpr_count:     0
    .vgpr_spill_count: 0
    .wavefront_size: 64
  - .agpr_count:     0
    .args:
      - .offset:         0
        .size:           32
        .value_kind:     by_value
    .group_segment_fixed_size: 0
    .kernarg_segment_align: 8
    .kernarg_segment_size: 32
    .language:       OpenCL C
    .language_version:
      - 2
      - 0
    .max_flat_workgroup_size: 64
    .name:           _ZN7rocprim17ROCPRIM_400000_NS6detail17trampoline_kernelINS0_14default_configENS1_20scan_config_selectorIfEEZZNS1_9scan_implILNS1_25lookback_scan_determinismE0ELb1ELb1ES3_N6thrust23THRUST_200600_302600_NS6detail15normal_iteratorINS9_10device_ptrIKfEEEENSB_INSC_IfEEEEfNS9_4plusIvEEfEEDaPvRmT3_T4_T5_mT6_P12ihipStream_tbENKUlT_T0_E_clISt17integral_constantIbLb1EESW_IbLb0EEEEDaSS_ST_EUlSS_E0_NS1_11comp_targetILNS1_3genE8ELNS1_11target_archE1030ELNS1_3gpuE2ELNS1_3repE0EEENS1_30default_config_static_selectorELNS0_4arch9wavefront6targetE1EEEvT1_
    .private_segment_fixed_size: 0
    .sgpr_count:     6
    .sgpr_spill_count: 0
    .symbol:         _ZN7rocprim17ROCPRIM_400000_NS6detail17trampoline_kernelINS0_14default_configENS1_20scan_config_selectorIfEEZZNS1_9scan_implILNS1_25lookback_scan_determinismE0ELb1ELb1ES3_N6thrust23THRUST_200600_302600_NS6detail15normal_iteratorINS9_10device_ptrIKfEEEENSB_INSC_IfEEEEfNS9_4plusIvEEfEEDaPvRmT3_T4_T5_mT6_P12ihipStream_tbENKUlT_T0_E_clISt17integral_constantIbLb1EESW_IbLb0EEEEDaSS_ST_EUlSS_E0_NS1_11comp_targetILNS1_3genE8ELNS1_11target_archE1030ELNS1_3gpuE2ELNS1_3repE0EEENS1_30default_config_static_selectorELNS0_4arch9wavefront6targetE1EEEvT1_.kd
    .uniform_work_group_size: 1
    .uses_dynamic_stack: false
    .vgpr_count:     0
    .vgpr_spill_count: 0
    .wavefront_size: 64
  - .agpr_count:     0
    .args:
      - .address_space:  global
        .offset:         0
        .size:           8
        .value_kind:     global_buffer
      - .offset:         8
        .size:           4
        .value_kind:     by_value
      - .address_space:  global
        .offset:         16
        .size:           8
        .value_kind:     global_buffer
      - .offset:         24
        .size:           4
        .value_kind:     by_value
      - .address_space:  global
        .offset:         32
        .size:           8
        .value_kind:     global_buffer
      - .offset:         40
        .size:           4
        .value_kind:     hidden_block_count_x
      - .offset:         44
        .size:           4
        .value_kind:     hidden_block_count_y
      - .offset:         48
        .size:           4
        .value_kind:     hidden_block_count_z
      - .offset:         52
        .size:           2
        .value_kind:     hidden_group_size_x
      - .offset:         54
        .size:           2
        .value_kind:     hidden_group_size_y
      - .offset:         56
        .size:           2
        .value_kind:     hidden_group_size_z
      - .offset:         58
        .size:           2
        .value_kind:     hidden_remainder_x
      - .offset:         60
        .size:           2
        .value_kind:     hidden_remainder_y
      - .offset:         62
        .size:           2
        .value_kind:     hidden_remainder_z
      - .offset:         80
        .size:           8
        .value_kind:     hidden_global_offset_x
      - .offset:         88
        .size:           8
        .value_kind:     hidden_global_offset_y
      - .offset:         96
        .size:           8
        .value_kind:     hidden_global_offset_z
      - .offset:         104
        .size:           2
        .value_kind:     hidden_grid_dims
    .group_segment_fixed_size: 0
    .kernarg_segment_align: 8
    .kernarg_segment_size: 296
    .language:       OpenCL C
    .language_version:
      - 2
      - 0
    .max_flat_workgroup_size: 256
    .name:           _ZN7rocprim17ROCPRIM_400000_NS6detail31init_lookback_scan_state_kernelINS1_19lookback_scan_stateIfLb0ELb1EEENS1_16block_id_wrapperIjLb1EEEEEvT_jT0_jPNS7_10value_typeE
    .private_segment_fixed_size: 0
    .sgpr_count:     17
    .sgpr_spill_count: 0
    .symbol:         _ZN7rocprim17ROCPRIM_400000_NS6detail31init_lookback_scan_state_kernelINS1_19lookback_scan_stateIfLb0ELb1EEENS1_16block_id_wrapperIjLb1EEEEEvT_jT0_jPNS7_10value_typeE.kd
    .uniform_work_group_size: 1
    .uses_dynamic_stack: false
    .vgpr_count:     6
    .vgpr_spill_count: 0
    .wavefront_size: 64
  - .agpr_count:     0
    .args:
      - .offset:         0
        .size:           96
        .value_kind:     by_value
    .group_segment_fixed_size: 0
    .kernarg_segment_align: 8
    .kernarg_segment_size: 96
    .language:       OpenCL C
    .language_version:
      - 2
      - 0
    .max_flat_workgroup_size: 256
    .name:           _ZN7rocprim17ROCPRIM_400000_NS6detail17trampoline_kernelINS0_14default_configENS1_20scan_config_selectorIfEEZZNS1_9scan_implILNS1_25lookback_scan_determinismE0ELb1ELb1ES3_N6thrust23THRUST_200600_302600_NS6detail15normal_iteratorINS9_10device_ptrIKfEEEENSB_INSC_IfEEEEfNS9_4plusIvEEfEEDaPvRmT3_T4_T5_mT6_P12ihipStream_tbENKUlT_T0_E_clISt17integral_constantIbLb0EESW_IbLb1EEEEDaSS_ST_EUlSS_E_NS1_11comp_targetILNS1_3genE0ELNS1_11target_archE4294967295ELNS1_3gpuE0ELNS1_3repE0EEENS1_30default_config_static_selectorELNS0_4arch9wavefront6targetE1EEEvT1_
    .private_segment_fixed_size: 0
    .sgpr_count:     6
    .sgpr_spill_count: 0
    .symbol:         _ZN7rocprim17ROCPRIM_400000_NS6detail17trampoline_kernelINS0_14default_configENS1_20scan_config_selectorIfEEZZNS1_9scan_implILNS1_25lookback_scan_determinismE0ELb1ELb1ES3_N6thrust23THRUST_200600_302600_NS6detail15normal_iteratorINS9_10device_ptrIKfEEEENSB_INSC_IfEEEEfNS9_4plusIvEEfEEDaPvRmT3_T4_T5_mT6_P12ihipStream_tbENKUlT_T0_E_clISt17integral_constantIbLb0EESW_IbLb1EEEEDaSS_ST_EUlSS_E_NS1_11comp_targetILNS1_3genE0ELNS1_11target_archE4294967295ELNS1_3gpuE0ELNS1_3repE0EEENS1_30default_config_static_selectorELNS0_4arch9wavefront6targetE1EEEvT1_.kd
    .uniform_work_group_size: 1
    .uses_dynamic_stack: false
    .vgpr_count:     0
    .vgpr_spill_count: 0
    .wavefront_size: 64
  - .agpr_count:     0
    .args:
      - .offset:         0
        .size:           96
        .value_kind:     by_value
    .group_segment_fixed_size: 24576
    .kernarg_segment_align: 8
    .kernarg_segment_size: 96
    .language:       OpenCL C
    .language_version:
      - 2
      - 0
    .max_flat_workgroup_size: 256
    .name:           _ZN7rocprim17ROCPRIM_400000_NS6detail17trampoline_kernelINS0_14default_configENS1_20scan_config_selectorIfEEZZNS1_9scan_implILNS1_25lookback_scan_determinismE0ELb1ELb1ES3_N6thrust23THRUST_200600_302600_NS6detail15normal_iteratorINS9_10device_ptrIKfEEEENSB_INSC_IfEEEEfNS9_4plusIvEEfEEDaPvRmT3_T4_T5_mT6_P12ihipStream_tbENKUlT_T0_E_clISt17integral_constantIbLb0EESW_IbLb1EEEEDaSS_ST_EUlSS_E_NS1_11comp_targetILNS1_3genE5ELNS1_11target_archE942ELNS1_3gpuE9ELNS1_3repE0EEENS1_30default_config_static_selectorELNS0_4arch9wavefront6targetE1EEEvT1_
    .private_segment_fixed_size: 0
    .sgpr_count:     47
    .sgpr_spill_count: 0
    .symbol:         _ZN7rocprim17ROCPRIM_400000_NS6detail17trampoline_kernelINS0_14default_configENS1_20scan_config_selectorIfEEZZNS1_9scan_implILNS1_25lookback_scan_determinismE0ELb1ELb1ES3_N6thrust23THRUST_200600_302600_NS6detail15normal_iteratorINS9_10device_ptrIKfEEEENSB_INSC_IfEEEEfNS9_4plusIvEEfEEDaPvRmT3_T4_T5_mT6_P12ihipStream_tbENKUlT_T0_E_clISt17integral_constantIbLb0EESW_IbLb1EEEEDaSS_ST_EUlSS_E_NS1_11comp_targetILNS1_3genE5ELNS1_11target_archE942ELNS1_3gpuE9ELNS1_3repE0EEENS1_30default_config_static_selectorELNS0_4arch9wavefront6targetE1EEEvT1_.kd
    .uniform_work_group_size: 1
    .uses_dynamic_stack: false
    .vgpr_count:     59
    .vgpr_spill_count: 0
    .wavefront_size: 64
  - .agpr_count:     0
    .args:
      - .offset:         0
        .size:           96
        .value_kind:     by_value
    .group_segment_fixed_size: 0
    .kernarg_segment_align: 8
    .kernarg_segment_size: 96
    .language:       OpenCL C
    .language_version:
      - 2
      - 0
    .max_flat_workgroup_size: 128
    .name:           _ZN7rocprim17ROCPRIM_400000_NS6detail17trampoline_kernelINS0_14default_configENS1_20scan_config_selectorIfEEZZNS1_9scan_implILNS1_25lookback_scan_determinismE0ELb1ELb1ES3_N6thrust23THRUST_200600_302600_NS6detail15normal_iteratorINS9_10device_ptrIKfEEEENSB_INSC_IfEEEEfNS9_4plusIvEEfEEDaPvRmT3_T4_T5_mT6_P12ihipStream_tbENKUlT_T0_E_clISt17integral_constantIbLb0EESW_IbLb1EEEEDaSS_ST_EUlSS_E_NS1_11comp_targetILNS1_3genE4ELNS1_11target_archE910ELNS1_3gpuE8ELNS1_3repE0EEENS1_30default_config_static_selectorELNS0_4arch9wavefront6targetE1EEEvT1_
    .private_segment_fixed_size: 0
    .sgpr_count:     6
    .sgpr_spill_count: 0
    .symbol:         _ZN7rocprim17ROCPRIM_400000_NS6detail17trampoline_kernelINS0_14default_configENS1_20scan_config_selectorIfEEZZNS1_9scan_implILNS1_25lookback_scan_determinismE0ELb1ELb1ES3_N6thrust23THRUST_200600_302600_NS6detail15normal_iteratorINS9_10device_ptrIKfEEEENSB_INSC_IfEEEEfNS9_4plusIvEEfEEDaPvRmT3_T4_T5_mT6_P12ihipStream_tbENKUlT_T0_E_clISt17integral_constantIbLb0EESW_IbLb1EEEEDaSS_ST_EUlSS_E_NS1_11comp_targetILNS1_3genE4ELNS1_11target_archE910ELNS1_3gpuE8ELNS1_3repE0EEENS1_30default_config_static_selectorELNS0_4arch9wavefront6targetE1EEEvT1_.kd
    .uniform_work_group_size: 1
    .uses_dynamic_stack: false
    .vgpr_count:     0
    .vgpr_spill_count: 0
    .wavefront_size: 64
  - .agpr_count:     0
    .args:
      - .offset:         0
        .size:           96
        .value_kind:     by_value
    .group_segment_fixed_size: 0
    .kernarg_segment_align: 8
    .kernarg_segment_size: 96
    .language:       OpenCL C
    .language_version:
      - 2
      - 0
    .max_flat_workgroup_size: 256
    .name:           _ZN7rocprim17ROCPRIM_400000_NS6detail17trampoline_kernelINS0_14default_configENS1_20scan_config_selectorIfEEZZNS1_9scan_implILNS1_25lookback_scan_determinismE0ELb1ELb1ES3_N6thrust23THRUST_200600_302600_NS6detail15normal_iteratorINS9_10device_ptrIKfEEEENSB_INSC_IfEEEEfNS9_4plusIvEEfEEDaPvRmT3_T4_T5_mT6_P12ihipStream_tbENKUlT_T0_E_clISt17integral_constantIbLb0EESW_IbLb1EEEEDaSS_ST_EUlSS_E_NS1_11comp_targetILNS1_3genE3ELNS1_11target_archE908ELNS1_3gpuE7ELNS1_3repE0EEENS1_30default_config_static_selectorELNS0_4arch9wavefront6targetE1EEEvT1_
    .private_segment_fixed_size: 0
    .sgpr_count:     6
    .sgpr_spill_count: 0
    .symbol:         _ZN7rocprim17ROCPRIM_400000_NS6detail17trampoline_kernelINS0_14default_configENS1_20scan_config_selectorIfEEZZNS1_9scan_implILNS1_25lookback_scan_determinismE0ELb1ELb1ES3_N6thrust23THRUST_200600_302600_NS6detail15normal_iteratorINS9_10device_ptrIKfEEEENSB_INSC_IfEEEEfNS9_4plusIvEEfEEDaPvRmT3_T4_T5_mT6_P12ihipStream_tbENKUlT_T0_E_clISt17integral_constantIbLb0EESW_IbLb1EEEEDaSS_ST_EUlSS_E_NS1_11comp_targetILNS1_3genE3ELNS1_11target_archE908ELNS1_3gpuE7ELNS1_3repE0EEENS1_30default_config_static_selectorELNS0_4arch9wavefront6targetE1EEEvT1_.kd
    .uniform_work_group_size: 1
    .uses_dynamic_stack: false
    .vgpr_count:     0
    .vgpr_spill_count: 0
    .wavefront_size: 64
  - .agpr_count:     0
    .args:
      - .offset:         0
        .size:           96
        .value_kind:     by_value
    .group_segment_fixed_size: 0
    .kernarg_segment_align: 8
    .kernarg_segment_size: 96
    .language:       OpenCL C
    .language_version:
      - 2
      - 0
    .max_flat_workgroup_size: 256
    .name:           _ZN7rocprim17ROCPRIM_400000_NS6detail17trampoline_kernelINS0_14default_configENS1_20scan_config_selectorIfEEZZNS1_9scan_implILNS1_25lookback_scan_determinismE0ELb1ELb1ES3_N6thrust23THRUST_200600_302600_NS6detail15normal_iteratorINS9_10device_ptrIKfEEEENSB_INSC_IfEEEEfNS9_4plusIvEEfEEDaPvRmT3_T4_T5_mT6_P12ihipStream_tbENKUlT_T0_E_clISt17integral_constantIbLb0EESW_IbLb1EEEEDaSS_ST_EUlSS_E_NS1_11comp_targetILNS1_3genE2ELNS1_11target_archE906ELNS1_3gpuE6ELNS1_3repE0EEENS1_30default_config_static_selectorELNS0_4arch9wavefront6targetE1EEEvT1_
    .private_segment_fixed_size: 0
    .sgpr_count:     6
    .sgpr_spill_count: 0
    .symbol:         _ZN7rocprim17ROCPRIM_400000_NS6detail17trampoline_kernelINS0_14default_configENS1_20scan_config_selectorIfEEZZNS1_9scan_implILNS1_25lookback_scan_determinismE0ELb1ELb1ES3_N6thrust23THRUST_200600_302600_NS6detail15normal_iteratorINS9_10device_ptrIKfEEEENSB_INSC_IfEEEEfNS9_4plusIvEEfEEDaPvRmT3_T4_T5_mT6_P12ihipStream_tbENKUlT_T0_E_clISt17integral_constantIbLb0EESW_IbLb1EEEEDaSS_ST_EUlSS_E_NS1_11comp_targetILNS1_3genE2ELNS1_11target_archE906ELNS1_3gpuE6ELNS1_3repE0EEENS1_30default_config_static_selectorELNS0_4arch9wavefront6targetE1EEEvT1_.kd
    .uniform_work_group_size: 1
    .uses_dynamic_stack: false
    .vgpr_count:     0
    .vgpr_spill_count: 0
    .wavefront_size: 64
  - .agpr_count:     0
    .args:
      - .offset:         0
        .size:           96
        .value_kind:     by_value
    .group_segment_fixed_size: 0
    .kernarg_segment_align: 8
    .kernarg_segment_size: 96
    .language:       OpenCL C
    .language_version:
      - 2
      - 0
    .max_flat_workgroup_size: 256
    .name:           _ZN7rocprim17ROCPRIM_400000_NS6detail17trampoline_kernelINS0_14default_configENS1_20scan_config_selectorIfEEZZNS1_9scan_implILNS1_25lookback_scan_determinismE0ELb1ELb1ES3_N6thrust23THRUST_200600_302600_NS6detail15normal_iteratorINS9_10device_ptrIKfEEEENSB_INSC_IfEEEEfNS9_4plusIvEEfEEDaPvRmT3_T4_T5_mT6_P12ihipStream_tbENKUlT_T0_E_clISt17integral_constantIbLb0EESW_IbLb1EEEEDaSS_ST_EUlSS_E_NS1_11comp_targetILNS1_3genE10ELNS1_11target_archE1201ELNS1_3gpuE5ELNS1_3repE0EEENS1_30default_config_static_selectorELNS0_4arch9wavefront6targetE1EEEvT1_
    .private_segment_fixed_size: 0
    .sgpr_count:     6
    .sgpr_spill_count: 0
    .symbol:         _ZN7rocprim17ROCPRIM_400000_NS6detail17trampoline_kernelINS0_14default_configENS1_20scan_config_selectorIfEEZZNS1_9scan_implILNS1_25lookback_scan_determinismE0ELb1ELb1ES3_N6thrust23THRUST_200600_302600_NS6detail15normal_iteratorINS9_10device_ptrIKfEEEENSB_INSC_IfEEEEfNS9_4plusIvEEfEEDaPvRmT3_T4_T5_mT6_P12ihipStream_tbENKUlT_T0_E_clISt17integral_constantIbLb0EESW_IbLb1EEEEDaSS_ST_EUlSS_E_NS1_11comp_targetILNS1_3genE10ELNS1_11target_archE1201ELNS1_3gpuE5ELNS1_3repE0EEENS1_30default_config_static_selectorELNS0_4arch9wavefront6targetE1EEEvT1_.kd
    .uniform_work_group_size: 1
    .uses_dynamic_stack: false
    .vgpr_count:     0
    .vgpr_spill_count: 0
    .wavefront_size: 64
  - .agpr_count:     0
    .args:
      - .offset:         0
        .size:           96
        .value_kind:     by_value
    .group_segment_fixed_size: 0
    .kernarg_segment_align: 8
    .kernarg_segment_size: 96
    .language:       OpenCL C
    .language_version:
      - 2
      - 0
    .max_flat_workgroup_size: 256
    .name:           _ZN7rocprim17ROCPRIM_400000_NS6detail17trampoline_kernelINS0_14default_configENS1_20scan_config_selectorIfEEZZNS1_9scan_implILNS1_25lookback_scan_determinismE0ELb1ELb1ES3_N6thrust23THRUST_200600_302600_NS6detail15normal_iteratorINS9_10device_ptrIKfEEEENSB_INSC_IfEEEEfNS9_4plusIvEEfEEDaPvRmT3_T4_T5_mT6_P12ihipStream_tbENKUlT_T0_E_clISt17integral_constantIbLb0EESW_IbLb1EEEEDaSS_ST_EUlSS_E_NS1_11comp_targetILNS1_3genE10ELNS1_11target_archE1200ELNS1_3gpuE4ELNS1_3repE0EEENS1_30default_config_static_selectorELNS0_4arch9wavefront6targetE1EEEvT1_
    .private_segment_fixed_size: 0
    .sgpr_count:     6
    .sgpr_spill_count: 0
    .symbol:         _ZN7rocprim17ROCPRIM_400000_NS6detail17trampoline_kernelINS0_14default_configENS1_20scan_config_selectorIfEEZZNS1_9scan_implILNS1_25lookback_scan_determinismE0ELb1ELb1ES3_N6thrust23THRUST_200600_302600_NS6detail15normal_iteratorINS9_10device_ptrIKfEEEENSB_INSC_IfEEEEfNS9_4plusIvEEfEEDaPvRmT3_T4_T5_mT6_P12ihipStream_tbENKUlT_T0_E_clISt17integral_constantIbLb0EESW_IbLb1EEEEDaSS_ST_EUlSS_E_NS1_11comp_targetILNS1_3genE10ELNS1_11target_archE1200ELNS1_3gpuE4ELNS1_3repE0EEENS1_30default_config_static_selectorELNS0_4arch9wavefront6targetE1EEEvT1_.kd
    .uniform_work_group_size: 1
    .uses_dynamic_stack: false
    .vgpr_count:     0
    .vgpr_spill_count: 0
    .wavefront_size: 64
  - .agpr_count:     0
    .args:
      - .offset:         0
        .size:           96
        .value_kind:     by_value
    .group_segment_fixed_size: 0
    .kernarg_segment_align: 8
    .kernarg_segment_size: 96
    .language:       OpenCL C
    .language_version:
      - 2
      - 0
    .max_flat_workgroup_size: 256
    .name:           _ZN7rocprim17ROCPRIM_400000_NS6detail17trampoline_kernelINS0_14default_configENS1_20scan_config_selectorIfEEZZNS1_9scan_implILNS1_25lookback_scan_determinismE0ELb1ELb1ES3_N6thrust23THRUST_200600_302600_NS6detail15normal_iteratorINS9_10device_ptrIKfEEEENSB_INSC_IfEEEEfNS9_4plusIvEEfEEDaPvRmT3_T4_T5_mT6_P12ihipStream_tbENKUlT_T0_E_clISt17integral_constantIbLb0EESW_IbLb1EEEEDaSS_ST_EUlSS_E_NS1_11comp_targetILNS1_3genE9ELNS1_11target_archE1100ELNS1_3gpuE3ELNS1_3repE0EEENS1_30default_config_static_selectorELNS0_4arch9wavefront6targetE1EEEvT1_
    .private_segment_fixed_size: 0
    .sgpr_count:     6
    .sgpr_spill_count: 0
    .symbol:         _ZN7rocprim17ROCPRIM_400000_NS6detail17trampoline_kernelINS0_14default_configENS1_20scan_config_selectorIfEEZZNS1_9scan_implILNS1_25lookback_scan_determinismE0ELb1ELb1ES3_N6thrust23THRUST_200600_302600_NS6detail15normal_iteratorINS9_10device_ptrIKfEEEENSB_INSC_IfEEEEfNS9_4plusIvEEfEEDaPvRmT3_T4_T5_mT6_P12ihipStream_tbENKUlT_T0_E_clISt17integral_constantIbLb0EESW_IbLb1EEEEDaSS_ST_EUlSS_E_NS1_11comp_targetILNS1_3genE9ELNS1_11target_archE1100ELNS1_3gpuE3ELNS1_3repE0EEENS1_30default_config_static_selectorELNS0_4arch9wavefront6targetE1EEEvT1_.kd
    .uniform_work_group_size: 1
    .uses_dynamic_stack: false
    .vgpr_count:     0
    .vgpr_spill_count: 0
    .wavefront_size: 64
  - .agpr_count:     0
    .args:
      - .offset:         0
        .size:           96
        .value_kind:     by_value
    .group_segment_fixed_size: 0
    .kernarg_segment_align: 8
    .kernarg_segment_size: 96
    .language:       OpenCL C
    .language_version:
      - 2
      - 0
    .max_flat_workgroup_size: 64
    .name:           _ZN7rocprim17ROCPRIM_400000_NS6detail17trampoline_kernelINS0_14default_configENS1_20scan_config_selectorIfEEZZNS1_9scan_implILNS1_25lookback_scan_determinismE0ELb1ELb1ES3_N6thrust23THRUST_200600_302600_NS6detail15normal_iteratorINS9_10device_ptrIKfEEEENSB_INSC_IfEEEEfNS9_4plusIvEEfEEDaPvRmT3_T4_T5_mT6_P12ihipStream_tbENKUlT_T0_E_clISt17integral_constantIbLb0EESW_IbLb1EEEEDaSS_ST_EUlSS_E_NS1_11comp_targetILNS1_3genE8ELNS1_11target_archE1030ELNS1_3gpuE2ELNS1_3repE0EEENS1_30default_config_static_selectorELNS0_4arch9wavefront6targetE1EEEvT1_
    .private_segment_fixed_size: 0
    .sgpr_count:     6
    .sgpr_spill_count: 0
    .symbol:         _ZN7rocprim17ROCPRIM_400000_NS6detail17trampoline_kernelINS0_14default_configENS1_20scan_config_selectorIfEEZZNS1_9scan_implILNS1_25lookback_scan_determinismE0ELb1ELb1ES3_N6thrust23THRUST_200600_302600_NS6detail15normal_iteratorINS9_10device_ptrIKfEEEENSB_INSC_IfEEEEfNS9_4plusIvEEfEEDaPvRmT3_T4_T5_mT6_P12ihipStream_tbENKUlT_T0_E_clISt17integral_constantIbLb0EESW_IbLb1EEEEDaSS_ST_EUlSS_E_NS1_11comp_targetILNS1_3genE8ELNS1_11target_archE1030ELNS1_3gpuE2ELNS1_3repE0EEENS1_30default_config_static_selectorELNS0_4arch9wavefront6targetE1EEEvT1_.kd
    .uniform_work_group_size: 1
    .uses_dynamic_stack: false
    .vgpr_count:     0
    .vgpr_spill_count: 0
    .wavefront_size: 64
  - .agpr_count:     0
    .args:
      - .offset:         0
        .size:           32
        .value_kind:     by_value
    .group_segment_fixed_size: 0
    .kernarg_segment_align: 8
    .kernarg_segment_size: 32
    .language:       OpenCL C
    .language_version:
      - 2
      - 0
    .max_flat_workgroup_size: 256
    .name:           _ZN7rocprim17ROCPRIM_400000_NS6detail17trampoline_kernelINS0_14default_configENS1_20scan_config_selectorIfEEZZNS1_9scan_implILNS1_25lookback_scan_determinismE0ELb1ELb1ES3_N6thrust23THRUST_200600_302600_NS6detail15normal_iteratorINS9_10device_ptrIKfEEEENSB_INSC_IfEEEEfNS9_4plusIvEEfEEDaPvRmT3_T4_T5_mT6_P12ihipStream_tbENKUlT_T0_E_clISt17integral_constantIbLb0EESW_IbLb1EEEEDaSS_ST_EUlSS_E0_NS1_11comp_targetILNS1_3genE0ELNS1_11target_archE4294967295ELNS1_3gpuE0ELNS1_3repE0EEENS1_30default_config_static_selectorELNS0_4arch9wavefront6targetE1EEEvT1_
    .private_segment_fixed_size: 0
    .sgpr_count:     6
    .sgpr_spill_count: 0
    .symbol:         _ZN7rocprim17ROCPRIM_400000_NS6detail17trampoline_kernelINS0_14default_configENS1_20scan_config_selectorIfEEZZNS1_9scan_implILNS1_25lookback_scan_determinismE0ELb1ELb1ES3_N6thrust23THRUST_200600_302600_NS6detail15normal_iteratorINS9_10device_ptrIKfEEEENSB_INSC_IfEEEEfNS9_4plusIvEEfEEDaPvRmT3_T4_T5_mT6_P12ihipStream_tbENKUlT_T0_E_clISt17integral_constantIbLb0EESW_IbLb1EEEEDaSS_ST_EUlSS_E0_NS1_11comp_targetILNS1_3genE0ELNS1_11target_archE4294967295ELNS1_3gpuE0ELNS1_3repE0EEENS1_30default_config_static_selectorELNS0_4arch9wavefront6targetE1EEEvT1_.kd
    .uniform_work_group_size: 1
    .uses_dynamic_stack: false
    .vgpr_count:     0
    .vgpr_spill_count: 0
    .wavefront_size: 64
  - .agpr_count:     0
    .args:
      - .offset:         0
        .size:           32
        .value_kind:     by_value
    .group_segment_fixed_size: 24576
    .kernarg_segment_align: 8
    .kernarg_segment_size: 32
    .language:       OpenCL C
    .language_version:
      - 2
      - 0
    .max_flat_workgroup_size: 256
    .name:           _ZN7rocprim17ROCPRIM_400000_NS6detail17trampoline_kernelINS0_14default_configENS1_20scan_config_selectorIfEEZZNS1_9scan_implILNS1_25lookback_scan_determinismE0ELb1ELb1ES3_N6thrust23THRUST_200600_302600_NS6detail15normal_iteratorINS9_10device_ptrIKfEEEENSB_INSC_IfEEEEfNS9_4plusIvEEfEEDaPvRmT3_T4_T5_mT6_P12ihipStream_tbENKUlT_T0_E_clISt17integral_constantIbLb0EESW_IbLb1EEEEDaSS_ST_EUlSS_E0_NS1_11comp_targetILNS1_3genE5ELNS1_11target_archE942ELNS1_3gpuE9ELNS1_3repE0EEENS1_30default_config_static_selectorELNS0_4arch9wavefront6targetE1EEEvT1_
    .private_segment_fixed_size: 0
    .sgpr_count:     65
    .sgpr_spill_count: 0
    .symbol:         _ZN7rocprim17ROCPRIM_400000_NS6detail17trampoline_kernelINS0_14default_configENS1_20scan_config_selectorIfEEZZNS1_9scan_implILNS1_25lookback_scan_determinismE0ELb1ELb1ES3_N6thrust23THRUST_200600_302600_NS6detail15normal_iteratorINS9_10device_ptrIKfEEEENSB_INSC_IfEEEEfNS9_4plusIvEEfEEDaPvRmT3_T4_T5_mT6_P12ihipStream_tbENKUlT_T0_E_clISt17integral_constantIbLb0EESW_IbLb1EEEEDaSS_ST_EUlSS_E0_NS1_11comp_targetILNS1_3genE5ELNS1_11target_archE942ELNS1_3gpuE9ELNS1_3repE0EEENS1_30default_config_static_selectorELNS0_4arch9wavefront6targetE1EEEvT1_.kd
    .uniform_work_group_size: 1
    .uses_dynamic_stack: false
    .vgpr_count:     34
    .vgpr_spill_count: 0
    .wavefront_size: 64
  - .agpr_count:     0
    .args:
      - .offset:         0
        .size:           32
        .value_kind:     by_value
    .group_segment_fixed_size: 0
    .kernarg_segment_align: 8
    .kernarg_segment_size: 32
    .language:       OpenCL C
    .language_version:
      - 2
      - 0
    .max_flat_workgroup_size: 128
    .name:           _ZN7rocprim17ROCPRIM_400000_NS6detail17trampoline_kernelINS0_14default_configENS1_20scan_config_selectorIfEEZZNS1_9scan_implILNS1_25lookback_scan_determinismE0ELb1ELb1ES3_N6thrust23THRUST_200600_302600_NS6detail15normal_iteratorINS9_10device_ptrIKfEEEENSB_INSC_IfEEEEfNS9_4plusIvEEfEEDaPvRmT3_T4_T5_mT6_P12ihipStream_tbENKUlT_T0_E_clISt17integral_constantIbLb0EESW_IbLb1EEEEDaSS_ST_EUlSS_E0_NS1_11comp_targetILNS1_3genE4ELNS1_11target_archE910ELNS1_3gpuE8ELNS1_3repE0EEENS1_30default_config_static_selectorELNS0_4arch9wavefront6targetE1EEEvT1_
    .private_segment_fixed_size: 0
    .sgpr_count:     6
    .sgpr_spill_count: 0
    .symbol:         _ZN7rocprim17ROCPRIM_400000_NS6detail17trampoline_kernelINS0_14default_configENS1_20scan_config_selectorIfEEZZNS1_9scan_implILNS1_25lookback_scan_determinismE0ELb1ELb1ES3_N6thrust23THRUST_200600_302600_NS6detail15normal_iteratorINS9_10device_ptrIKfEEEENSB_INSC_IfEEEEfNS9_4plusIvEEfEEDaPvRmT3_T4_T5_mT6_P12ihipStream_tbENKUlT_T0_E_clISt17integral_constantIbLb0EESW_IbLb1EEEEDaSS_ST_EUlSS_E0_NS1_11comp_targetILNS1_3genE4ELNS1_11target_archE910ELNS1_3gpuE8ELNS1_3repE0EEENS1_30default_config_static_selectorELNS0_4arch9wavefront6targetE1EEEvT1_.kd
    .uniform_work_group_size: 1
    .uses_dynamic_stack: false
    .vgpr_count:     0
    .vgpr_spill_count: 0
    .wavefront_size: 64
  - .agpr_count:     0
    .args:
      - .offset:         0
        .size:           32
        .value_kind:     by_value
    .group_segment_fixed_size: 0
    .kernarg_segment_align: 8
    .kernarg_segment_size: 32
    .language:       OpenCL C
    .language_version:
      - 2
      - 0
    .max_flat_workgroup_size: 256
    .name:           _ZN7rocprim17ROCPRIM_400000_NS6detail17trampoline_kernelINS0_14default_configENS1_20scan_config_selectorIfEEZZNS1_9scan_implILNS1_25lookback_scan_determinismE0ELb1ELb1ES3_N6thrust23THRUST_200600_302600_NS6detail15normal_iteratorINS9_10device_ptrIKfEEEENSB_INSC_IfEEEEfNS9_4plusIvEEfEEDaPvRmT3_T4_T5_mT6_P12ihipStream_tbENKUlT_T0_E_clISt17integral_constantIbLb0EESW_IbLb1EEEEDaSS_ST_EUlSS_E0_NS1_11comp_targetILNS1_3genE3ELNS1_11target_archE908ELNS1_3gpuE7ELNS1_3repE0EEENS1_30default_config_static_selectorELNS0_4arch9wavefront6targetE1EEEvT1_
    .private_segment_fixed_size: 0
    .sgpr_count:     6
    .sgpr_spill_count: 0
    .symbol:         _ZN7rocprim17ROCPRIM_400000_NS6detail17trampoline_kernelINS0_14default_configENS1_20scan_config_selectorIfEEZZNS1_9scan_implILNS1_25lookback_scan_determinismE0ELb1ELb1ES3_N6thrust23THRUST_200600_302600_NS6detail15normal_iteratorINS9_10device_ptrIKfEEEENSB_INSC_IfEEEEfNS9_4plusIvEEfEEDaPvRmT3_T4_T5_mT6_P12ihipStream_tbENKUlT_T0_E_clISt17integral_constantIbLb0EESW_IbLb1EEEEDaSS_ST_EUlSS_E0_NS1_11comp_targetILNS1_3genE3ELNS1_11target_archE908ELNS1_3gpuE7ELNS1_3repE0EEENS1_30default_config_static_selectorELNS0_4arch9wavefront6targetE1EEEvT1_.kd
    .uniform_work_group_size: 1
    .uses_dynamic_stack: false
    .vgpr_count:     0
    .vgpr_spill_count: 0
    .wavefront_size: 64
  - .agpr_count:     0
    .args:
      - .offset:         0
        .size:           32
        .value_kind:     by_value
    .group_segment_fixed_size: 0
    .kernarg_segment_align: 8
    .kernarg_segment_size: 32
    .language:       OpenCL C
    .language_version:
      - 2
      - 0
    .max_flat_workgroup_size: 256
    .name:           _ZN7rocprim17ROCPRIM_400000_NS6detail17trampoline_kernelINS0_14default_configENS1_20scan_config_selectorIfEEZZNS1_9scan_implILNS1_25lookback_scan_determinismE0ELb1ELb1ES3_N6thrust23THRUST_200600_302600_NS6detail15normal_iteratorINS9_10device_ptrIKfEEEENSB_INSC_IfEEEEfNS9_4plusIvEEfEEDaPvRmT3_T4_T5_mT6_P12ihipStream_tbENKUlT_T0_E_clISt17integral_constantIbLb0EESW_IbLb1EEEEDaSS_ST_EUlSS_E0_NS1_11comp_targetILNS1_3genE2ELNS1_11target_archE906ELNS1_3gpuE6ELNS1_3repE0EEENS1_30default_config_static_selectorELNS0_4arch9wavefront6targetE1EEEvT1_
    .private_segment_fixed_size: 0
    .sgpr_count:     6
    .sgpr_spill_count: 0
    .symbol:         _ZN7rocprim17ROCPRIM_400000_NS6detail17trampoline_kernelINS0_14default_configENS1_20scan_config_selectorIfEEZZNS1_9scan_implILNS1_25lookback_scan_determinismE0ELb1ELb1ES3_N6thrust23THRUST_200600_302600_NS6detail15normal_iteratorINS9_10device_ptrIKfEEEENSB_INSC_IfEEEEfNS9_4plusIvEEfEEDaPvRmT3_T4_T5_mT6_P12ihipStream_tbENKUlT_T0_E_clISt17integral_constantIbLb0EESW_IbLb1EEEEDaSS_ST_EUlSS_E0_NS1_11comp_targetILNS1_3genE2ELNS1_11target_archE906ELNS1_3gpuE6ELNS1_3repE0EEENS1_30default_config_static_selectorELNS0_4arch9wavefront6targetE1EEEvT1_.kd
    .uniform_work_group_size: 1
    .uses_dynamic_stack: false
    .vgpr_count:     0
    .vgpr_spill_count: 0
    .wavefront_size: 64
  - .agpr_count:     0
    .args:
      - .offset:         0
        .size:           32
        .value_kind:     by_value
    .group_segment_fixed_size: 0
    .kernarg_segment_align: 8
    .kernarg_segment_size: 32
    .language:       OpenCL C
    .language_version:
      - 2
      - 0
    .max_flat_workgroup_size: 256
    .name:           _ZN7rocprim17ROCPRIM_400000_NS6detail17trampoline_kernelINS0_14default_configENS1_20scan_config_selectorIfEEZZNS1_9scan_implILNS1_25lookback_scan_determinismE0ELb1ELb1ES3_N6thrust23THRUST_200600_302600_NS6detail15normal_iteratorINS9_10device_ptrIKfEEEENSB_INSC_IfEEEEfNS9_4plusIvEEfEEDaPvRmT3_T4_T5_mT6_P12ihipStream_tbENKUlT_T0_E_clISt17integral_constantIbLb0EESW_IbLb1EEEEDaSS_ST_EUlSS_E0_NS1_11comp_targetILNS1_3genE10ELNS1_11target_archE1201ELNS1_3gpuE5ELNS1_3repE0EEENS1_30default_config_static_selectorELNS0_4arch9wavefront6targetE1EEEvT1_
    .private_segment_fixed_size: 0
    .sgpr_count:     6
    .sgpr_spill_count: 0
    .symbol:         _ZN7rocprim17ROCPRIM_400000_NS6detail17trampoline_kernelINS0_14default_configENS1_20scan_config_selectorIfEEZZNS1_9scan_implILNS1_25lookback_scan_determinismE0ELb1ELb1ES3_N6thrust23THRUST_200600_302600_NS6detail15normal_iteratorINS9_10device_ptrIKfEEEENSB_INSC_IfEEEEfNS9_4plusIvEEfEEDaPvRmT3_T4_T5_mT6_P12ihipStream_tbENKUlT_T0_E_clISt17integral_constantIbLb0EESW_IbLb1EEEEDaSS_ST_EUlSS_E0_NS1_11comp_targetILNS1_3genE10ELNS1_11target_archE1201ELNS1_3gpuE5ELNS1_3repE0EEENS1_30default_config_static_selectorELNS0_4arch9wavefront6targetE1EEEvT1_.kd
    .uniform_work_group_size: 1
    .uses_dynamic_stack: false
    .vgpr_count:     0
    .vgpr_spill_count: 0
    .wavefront_size: 64
  - .agpr_count:     0
    .args:
      - .offset:         0
        .size:           32
        .value_kind:     by_value
    .group_segment_fixed_size: 0
    .kernarg_segment_align: 8
    .kernarg_segment_size: 32
    .language:       OpenCL C
    .language_version:
      - 2
      - 0
    .max_flat_workgroup_size: 256
    .name:           _ZN7rocprim17ROCPRIM_400000_NS6detail17trampoline_kernelINS0_14default_configENS1_20scan_config_selectorIfEEZZNS1_9scan_implILNS1_25lookback_scan_determinismE0ELb1ELb1ES3_N6thrust23THRUST_200600_302600_NS6detail15normal_iteratorINS9_10device_ptrIKfEEEENSB_INSC_IfEEEEfNS9_4plusIvEEfEEDaPvRmT3_T4_T5_mT6_P12ihipStream_tbENKUlT_T0_E_clISt17integral_constantIbLb0EESW_IbLb1EEEEDaSS_ST_EUlSS_E0_NS1_11comp_targetILNS1_3genE10ELNS1_11target_archE1200ELNS1_3gpuE4ELNS1_3repE0EEENS1_30default_config_static_selectorELNS0_4arch9wavefront6targetE1EEEvT1_
    .private_segment_fixed_size: 0
    .sgpr_count:     6
    .sgpr_spill_count: 0
    .symbol:         _ZN7rocprim17ROCPRIM_400000_NS6detail17trampoline_kernelINS0_14default_configENS1_20scan_config_selectorIfEEZZNS1_9scan_implILNS1_25lookback_scan_determinismE0ELb1ELb1ES3_N6thrust23THRUST_200600_302600_NS6detail15normal_iteratorINS9_10device_ptrIKfEEEENSB_INSC_IfEEEEfNS9_4plusIvEEfEEDaPvRmT3_T4_T5_mT6_P12ihipStream_tbENKUlT_T0_E_clISt17integral_constantIbLb0EESW_IbLb1EEEEDaSS_ST_EUlSS_E0_NS1_11comp_targetILNS1_3genE10ELNS1_11target_archE1200ELNS1_3gpuE4ELNS1_3repE0EEENS1_30default_config_static_selectorELNS0_4arch9wavefront6targetE1EEEvT1_.kd
    .uniform_work_group_size: 1
    .uses_dynamic_stack: false
    .vgpr_count:     0
    .vgpr_spill_count: 0
    .wavefront_size: 64
  - .agpr_count:     0
    .args:
      - .offset:         0
        .size:           32
        .value_kind:     by_value
    .group_segment_fixed_size: 0
    .kernarg_segment_align: 8
    .kernarg_segment_size: 32
    .language:       OpenCL C
    .language_version:
      - 2
      - 0
    .max_flat_workgroup_size: 256
    .name:           _ZN7rocprim17ROCPRIM_400000_NS6detail17trampoline_kernelINS0_14default_configENS1_20scan_config_selectorIfEEZZNS1_9scan_implILNS1_25lookback_scan_determinismE0ELb1ELb1ES3_N6thrust23THRUST_200600_302600_NS6detail15normal_iteratorINS9_10device_ptrIKfEEEENSB_INSC_IfEEEEfNS9_4plusIvEEfEEDaPvRmT3_T4_T5_mT6_P12ihipStream_tbENKUlT_T0_E_clISt17integral_constantIbLb0EESW_IbLb1EEEEDaSS_ST_EUlSS_E0_NS1_11comp_targetILNS1_3genE9ELNS1_11target_archE1100ELNS1_3gpuE3ELNS1_3repE0EEENS1_30default_config_static_selectorELNS0_4arch9wavefront6targetE1EEEvT1_
    .private_segment_fixed_size: 0
    .sgpr_count:     6
    .sgpr_spill_count: 0
    .symbol:         _ZN7rocprim17ROCPRIM_400000_NS6detail17trampoline_kernelINS0_14default_configENS1_20scan_config_selectorIfEEZZNS1_9scan_implILNS1_25lookback_scan_determinismE0ELb1ELb1ES3_N6thrust23THRUST_200600_302600_NS6detail15normal_iteratorINS9_10device_ptrIKfEEEENSB_INSC_IfEEEEfNS9_4plusIvEEfEEDaPvRmT3_T4_T5_mT6_P12ihipStream_tbENKUlT_T0_E_clISt17integral_constantIbLb0EESW_IbLb1EEEEDaSS_ST_EUlSS_E0_NS1_11comp_targetILNS1_3genE9ELNS1_11target_archE1100ELNS1_3gpuE3ELNS1_3repE0EEENS1_30default_config_static_selectorELNS0_4arch9wavefront6targetE1EEEvT1_.kd
    .uniform_work_group_size: 1
    .uses_dynamic_stack: false
    .vgpr_count:     0
    .vgpr_spill_count: 0
    .wavefront_size: 64
  - .agpr_count:     0
    .args:
      - .offset:         0
        .size:           32
        .value_kind:     by_value
    .group_segment_fixed_size: 0
    .kernarg_segment_align: 8
    .kernarg_segment_size: 32
    .language:       OpenCL C
    .language_version:
      - 2
      - 0
    .max_flat_workgroup_size: 64
    .name:           _ZN7rocprim17ROCPRIM_400000_NS6detail17trampoline_kernelINS0_14default_configENS1_20scan_config_selectorIfEEZZNS1_9scan_implILNS1_25lookback_scan_determinismE0ELb1ELb1ES3_N6thrust23THRUST_200600_302600_NS6detail15normal_iteratorINS9_10device_ptrIKfEEEENSB_INSC_IfEEEEfNS9_4plusIvEEfEEDaPvRmT3_T4_T5_mT6_P12ihipStream_tbENKUlT_T0_E_clISt17integral_constantIbLb0EESW_IbLb1EEEEDaSS_ST_EUlSS_E0_NS1_11comp_targetILNS1_3genE8ELNS1_11target_archE1030ELNS1_3gpuE2ELNS1_3repE0EEENS1_30default_config_static_selectorELNS0_4arch9wavefront6targetE1EEEvT1_
    .private_segment_fixed_size: 0
    .sgpr_count:     6
    .sgpr_spill_count: 0
    .symbol:         _ZN7rocprim17ROCPRIM_400000_NS6detail17trampoline_kernelINS0_14default_configENS1_20scan_config_selectorIfEEZZNS1_9scan_implILNS1_25lookback_scan_determinismE0ELb1ELb1ES3_N6thrust23THRUST_200600_302600_NS6detail15normal_iteratorINS9_10device_ptrIKfEEEENSB_INSC_IfEEEEfNS9_4plusIvEEfEEDaPvRmT3_T4_T5_mT6_P12ihipStream_tbENKUlT_T0_E_clISt17integral_constantIbLb0EESW_IbLb1EEEEDaSS_ST_EUlSS_E0_NS1_11comp_targetILNS1_3genE8ELNS1_11target_archE1030ELNS1_3gpuE2ELNS1_3repE0EEENS1_30default_config_static_selectorELNS0_4arch9wavefront6targetE1EEEvT1_.kd
    .uniform_work_group_size: 1
    .uses_dynamic_stack: false
    .vgpr_count:     0
    .vgpr_spill_count: 0
    .wavefront_size: 64
  - .agpr_count:     0
    .args:
      - .offset:         0
        .size:           32
        .value_kind:     by_value
      - .offset:         32
        .size:           8
        .value_kind:     by_value
      - .offset:         40
        .size:           8
        .value_kind:     by_value
    .group_segment_fixed_size: 0
    .kernarg_segment_align: 8
    .kernarg_segment_size: 48
    .language:       OpenCL C
    .language_version:
      - 2
      - 0
    .max_flat_workgroup_size: 256
    .name:           _ZN6thrust23THRUST_200600_302600_NS11hip_rocprim14__parallel_for6kernelILj256ENS1_11__transform18binary_transform_fINS0_6detail15normal_iteratorINS0_10device_ptrIfEEEESA_SA_NS4_14no_stencil_tagE16minus_and_divideIfENS4_21always_true_predicateEEElLj1EEEvT0_T1_SH_
    .private_segment_fixed_size: 0
    .sgpr_count:     16
    .sgpr_spill_count: 0
    .symbol:         _ZN6thrust23THRUST_200600_302600_NS11hip_rocprim14__parallel_for6kernelILj256ENS1_11__transform18binary_transform_fINS0_6detail15normal_iteratorINS0_10device_ptrIfEEEESA_SA_NS4_14no_stencil_tagE16minus_and_divideIfENS4_21always_true_predicateEEElLj1EEEvT0_T1_SH_.kd
    .uniform_work_group_size: 1
    .uses_dynamic_stack: false
    .vgpr_count:     8
    .vgpr_spill_count: 0
    .wavefront_size: 64
amdhsa.target:   amdgcn-amd-amdhsa--gfx942
amdhsa.version:
  - 1
  - 2
...

	.end_amdgpu_metadata
